;; amdgpu-corpus repo=ROCm/rccl kind=compiled arch=gfx906 opt=O3
	.amdgcn_target "amdgcn-amd-amdhsa--gfx906"
	.amdhsa_code_object_version 6
	.text
	.protected	_Z18initTestDataKernelPfmi ; -- Begin function _Z18initTestDataKernelPfmi
	.globl	_Z18initTestDataKernelPfmi
	.p2align	8
	.type	_Z18initTestDataKernelPfmi,@function
_Z18initTestDataKernelPfmi:             ; @_Z18initTestDataKernelPfmi
; %bb.0:
	s_load_dword s2, s[4:5], 0x24
	s_load_dwordx4 s[8:11], s[4:5], 0x0
	s_add_u32 s0, s4, 24
	s_addc_u32 s1, s5, 0
	s_waitcnt lgkmcnt(0)
	s_and_b32 s12, s2, 0xffff
	s_mul_i32 s7, s6, s12
	v_add_u32_e32 v1, s7, v0
	v_ashrrev_i32_e32 v2, 31, v1
	v_cmp_gt_u64_e32 vcc, s[10:11], v[1:2]
	s_and_saveexec_b64 s[2:3], vcc
	s_cbranch_execz .LBB0_3
; %bb.1:
	s_load_dword s13, s[4:5], 0x10
	s_load_dword s14, s[0:1], 0x0
	s_mov_b64 s[2:3], 0
	v_mov_b32_e32 v3, s9
	s_waitcnt lgkmcnt(0)
	s_mul_i32 s4, s13, 17
	s_add_i32 s6, s6, s14
	s_mul_i32 s5, s14, s12
	s_mul_i32 s6, s6, s12
	s_mov_b32 s12, 0x3531dec1
	s_movk_i32 s13, 0x4d
.LBB0_2:                                ; =>This Inner Loop Header: Depth=1
	v_add_u32_e32 v4, s7, v0
	v_mul_hi_i32 v5, v4, s12
	v_lshrrev_b32_e32 v6, 31, v5
	v_ashrrev_i32_e32 v5, 4, v5
	v_add_u32_e32 v5, v5, v6
	v_mul_lo_u32 v5, v5, s13
	v_sub_u32_e32 v4, v4, v5
	v_add_u32_e32 v4, s4, v4
	v_cvt_f32_i32_e32 v6, v4
	v_div_scale_f32 v4, s[0:1], v6, v6, 1.0
	v_div_scale_f32 v5, vcc, 1.0, v6, 1.0
	v_rcp_f32_e32 v7, v4
	v_fma_f32 v8, -v4, v7, 1.0
	v_fmac_f32_e32 v7, v8, v7
	v_mul_f32_e32 v8, v5, v7
	v_fma_f32 v9, -v4, v8, v5
	v_fmac_f32_e32 v8, v9, v7
	v_fma_f32 v4, -v4, v8, v5
	v_div_fmas_f32 v7, v4, v7, v8
	v_lshlrev_b64 v[4:5], 2, v[1:2]
	v_add_u32_e32 v1, s6, v0
	v_ashrrev_i32_e32 v2, 31, v1
	v_cmp_le_u64_e32 vcc, s[10:11], v[1:2]
	v_add_co_u32_e64 v4, s[0:1], s8, v4
	v_add_u32_e32 v0, s5, v0
	v_addc_co_u32_e64 v5, s[0:1], v3, v5, s[0:1]
	s_or_b64 s[2:3], vcc, s[2:3]
	v_div_fixup_f32 v6, v7, v6, 1.0
	global_store_dword v[4:5], v6, off
	s_andn2_b64 exec, exec, s[2:3]
	s_cbranch_execnz .LBB0_2
.LBB0_3:
	s_endpgm
	.section	.rodata,"a",@progbits
	.p2align	6, 0x0
	.amdhsa_kernel _Z18initTestDataKernelPfmi
		.amdhsa_group_segment_fixed_size 0
		.amdhsa_private_segment_fixed_size 0
		.amdhsa_kernarg_size 280
		.amdhsa_user_sgpr_count 6
		.amdhsa_user_sgpr_private_segment_buffer 1
		.amdhsa_user_sgpr_dispatch_ptr 0
		.amdhsa_user_sgpr_queue_ptr 0
		.amdhsa_user_sgpr_kernarg_segment_ptr 1
		.amdhsa_user_sgpr_dispatch_id 0
		.amdhsa_user_sgpr_flat_scratch_init 0
		.amdhsa_user_sgpr_private_segment_size 0
		.amdhsa_uses_dynamic_stack 0
		.amdhsa_system_sgpr_private_segment_wavefront_offset 0
		.amdhsa_system_sgpr_workgroup_id_x 1
		.amdhsa_system_sgpr_workgroup_id_y 0
		.amdhsa_system_sgpr_workgroup_id_z 0
		.amdhsa_system_sgpr_workgroup_info 0
		.amdhsa_system_vgpr_workitem_id 0
		.amdhsa_next_free_vgpr 10
		.amdhsa_next_free_sgpr 15
		.amdhsa_reserve_vcc 1
		.amdhsa_reserve_flat_scratch 0
		.amdhsa_float_round_mode_32 0
		.amdhsa_float_round_mode_16_64 0
		.amdhsa_float_denorm_mode_32 3
		.amdhsa_float_denorm_mode_16_64 3
		.amdhsa_dx10_clamp 1
		.amdhsa_ieee_mode 1
		.amdhsa_fp16_overflow 0
		.amdhsa_exception_fp_ieee_invalid_op 0
		.amdhsa_exception_fp_denorm_src 0
		.amdhsa_exception_fp_ieee_div_zero 0
		.amdhsa_exception_fp_ieee_overflow 0
		.amdhsa_exception_fp_ieee_underflow 0
		.amdhsa_exception_fp_ieee_inexact 0
		.amdhsa_exception_int_div_zero 0
	.end_amdhsa_kernel
	.text
.Lfunc_end0:
	.size	_Z18initTestDataKernelPfmi, .Lfunc_end0-_Z18initTestDataKernelPfmi
                                        ; -- End function
	.set _Z18initTestDataKernelPfmi.num_vgpr, 10
	.set _Z18initTestDataKernelPfmi.num_agpr, 0
	.set _Z18initTestDataKernelPfmi.numbered_sgpr, 15
	.set _Z18initTestDataKernelPfmi.num_named_barrier, 0
	.set _Z18initTestDataKernelPfmi.private_seg_size, 0
	.set _Z18initTestDataKernelPfmi.uses_vcc, 1
	.set _Z18initTestDataKernelPfmi.uses_flat_scratch, 0
	.set _Z18initTestDataKernelPfmi.has_dyn_sized_stack, 0
	.set _Z18initTestDataKernelPfmi.has_recursion, 0
	.set _Z18initTestDataKernelPfmi.has_indirect_call, 0
	.section	.AMDGPU.csdata,"",@progbits
; Kernel info:
; codeLenInByte = 296
; TotalNumSgprs: 19
; NumVgprs: 10
; ScratchSize: 0
; MemoryBound: 0
; FloatMode: 240
; IeeeMode: 1
; LDSByteSize: 0 bytes/workgroup (compile time only)
; SGPRBlocks: 2
; VGPRBlocks: 2
; NumSGPRsForWavesPerEU: 19
; NumVGPRsForWavesPerEU: 10
; Occupancy: 10
; WaveLimiterHint : 0
; COMPUTE_PGM_RSRC2:SCRATCH_EN: 0
; COMPUTE_PGM_RSRC2:USER_SGPR: 6
; COMPUTE_PGM_RSRC2:TRAP_HANDLER: 0
; COMPUTE_PGM_RSRC2:TGID_X_EN: 1
; COMPUTE_PGM_RSRC2:TGID_Y_EN: 0
; COMPUTE_PGM_RSRC2:TGID_Z_EN: 0
; COMPUTE_PGM_RSRC2:TIDIG_COMP_CNT: 0
	.section	.text._Z16flag_sync_kernelILi0ELi0EEvP15transfer_data_tP16profiling_data_tm,"axG",@progbits,_Z16flag_sync_kernelILi0ELi0EEvP15transfer_data_tP16profiling_data_tm,comdat
	.protected	_Z16flag_sync_kernelILi0ELi0EEvP15transfer_data_tP16profiling_data_tm ; -- Begin function _Z16flag_sync_kernelILi0ELi0EEvP15transfer_data_tP16profiling_data_tm
	.globl	_Z16flag_sync_kernelILi0ELi0EEvP15transfer_data_tP16profiling_data_tm
	.p2align	8
	.type	_Z16flag_sync_kernelILi0ELi0EEvP15transfer_data_tP16profiling_data_tm,@function
_Z16flag_sync_kernelILi0ELi0EEvP15transfer_data_tP16profiling_data_tm: ; @_Z16flag_sync_kernelILi0ELi0EEvP15transfer_data_tP16profiling_data_tm
; %bb.0:
	s_load_dwordx4 s[8:11], s[4:5], 0x0
	s_mov_b64 s[26:27], s[2:3]
	s_mov_b64 s[24:25], s[0:1]
	s_add_u32 s24, s24, s7
	s_addc_u32 s25, s25, 0
	s_waitcnt lgkmcnt(0)
	s_load_dword s18, s[8:9], 0x8c0
	v_cmp_eq_u32_e64 s[0:1], 0, v0
	s_and_saveexec_b64 s[2:3], s[0:1]
	s_cbranch_execz .LBB1_5
; %bb.1:
	s_load_dword s4, s[8:9], 0x8c4
	s_load_dwordx2 s[14:15], s[8:9], 0x8d0
	s_mov_b64 s[12:13], src_private_base
	s_waitcnt lgkmcnt(0)
	s_ashr_i32 s5, s4, 31
	s_lshl_b64 s[4:5], s[4:5], 3
	s_add_u32 s4, s14, s4
	s_addc_u32 s5, s15, s5
	s_cmp_eq_u32 s5, s13
	s_cselect_b64 s[12:13], -1, 0
	s_andn2_b64 vcc, exec, s[12:13]
	s_mov_b64 s[12:13], -1
	s_cbranch_vccz .LBB1_3
; %bb.2:
	v_mov_b32_e32 v1, 1
	v_mov_b32_e32 v3, s4
	;; [unrolled: 1-line block ×4, first 2 shown]
	flat_atomic_add_x2 v[3:4], v[1:2]
	s_waitcnt vmcnt(0) lgkmcnt(0)
	buffer_wbinvl1_vol
	s_mov_b64 s[12:13], 0
.LBB1_3:
	s_andn2_b64 vcc, exec, s[12:13]
	s_cbranch_vccnz .LBB1_5
; %bb.4:
	s_cmp_lg_u64 s[4:5], 0
	s_cselect_b32 s4, s4, -1
	v_mov_b32_e32 v1, s4
	buffer_load_dword v2, v1, s[24:27], 0 offen
	buffer_load_dword v3, v1, s[24:27], 0 offen offset:4
	s_waitcnt vmcnt(1)
	v_add_co_u32_e32 v2, vcc, 1, v2
	s_waitcnt vmcnt(0)
	v_addc_co_u32_e32 v3, vcc, 0, v3, vcc
	buffer_store_dword v2, v1, s[24:27], 0 offen
	buffer_store_dword v3, v1, s[24:27], 0 offen offset:4
.LBB1_5:
	s_or_b64 exec, exec, s[2:3]
	s_waitcnt vmcnt(0) lgkmcnt(0)
	s_barrier
                                        ; implicit-def: $sgpr12_sgpr13
	s_and_saveexec_b64 s[2:3], s[0:1]
; %bb.6:
	s_memrealtime s[12:13]
; %bb.7:
	s_or_b64 exec, exec, s[2:3]
	s_ashr_i32 s7, s6, 31
	s_cmp_lt_i32 s18, 1
	s_cbranch_scc1 .LBB1_30
; %bb.8:
	s_lshl_b64 s[2:3], s[6:7], 3
	s_add_u32 s2, s8, s2
	s_addc_u32 s3, s9, s3
	v_mov_b32_e32 v5, 0
	global_load_dwordx2 v[1:2], v5, s[2:3] offset:448
	global_load_dwordx2 v[3:4], v5, s[2:3]
	v_lshrrev_b32_e32 v6, 6, v0
	v_and_b32_e32 v7, 63, v0
	s_mov_b32 s2, 0
	s_waitcnt vmcnt(0)
	v_or_b32_e32 v5, v3, v1
	v_and_b32_e32 v5, 3, v5
	v_cmp_eq_u32_e32 vcc, 0, v5
	v_lshl_or_b32 v5, v6, 9, v7
	s_cbranch_vccnz .LBB1_19
; %bb.9:
	v_lshl_or_b32 v6, v6, 9, v7
	s_mov_b64 s[8:9], -1
	s_cbranch_execnz .LBB1_20
.LBB1_10:
	s_lshr_b32 s2, s18, 2
	s_and_b32 s19, s2, 0x1ffffe00
	v_cmp_gt_u32_e32 vcc, s19, v5
	s_and_saveexec_b64 s[14:15], vcc
	s_cbranch_execz .LBB1_13
; %bb.11:
	v_lshlrev_b32_e32 v8, 4, v5
	v_add_co_u32_e32 v6, vcc, v3, v8
	v_addc_co_u32_e32 v7, vcc, 0, v4, vcc
	v_add_co_u32_e32 v8, vcc, v1, v8
	v_addc_co_u32_e32 v9, vcc, 0, v2, vcc
	s_mov_b64 s[16:17], 0
	s_movk_i32 s20, 0x1000
	v_mov_b32_e32 v10, v5
.LBB1_12:                               ; =>This Inner Loop Header: Depth=1
	v_add_co_u32_e32 v39, vcc, 0x1000, v8
	s_mov_b64 s[2:3], vcc
	flat_load_dwordx4 v[11:14], v[8:9] glc slc
	flat_load_dwordx4 v[15:18], v[8:9] offset:1024 glc slc
	flat_load_dwordx4 v[19:22], v[8:9] offset:2048 glc slc
	flat_load_dwordx4 v[23:26], v[8:9] offset:3072 glc slc
	v_mov_b32_e32 v27, v39
	v_addc_co_u32_e64 v28, s[2:3], 0, v9, s[2:3]
	v_addc_co_u32_e32 v40, vcc, 0, v9, vcc
	flat_load_dwordx4 v[27:30], v[27:28] glc slc
	s_nop 0
	flat_load_dwordx4 v[31:34], v[39:40] offset:1024 glc slc
	flat_load_dwordx4 v[35:38], v[39:40] offset:2048 glc slc
	s_nop 0
	flat_load_dwordx4 v[39:42], v[39:40] offset:3072 glc slc
	v_add_co_u32_e32 v43, vcc, s20, v6
	s_mov_b64 s[2:3], vcc
	v_add_co_u32_e32 v8, vcc, 0x8000, v8
	v_add_u32_e32 v10, 0x800, v10
	v_addc_co_u32_e32 v9, vcc, 0, v9, vcc
	v_cmp_le_u32_e64 s[4:5], s19, v10
	s_or_b64 s[16:17], s[4:5], s[16:17]
	v_addc_co_u32_e64 v44, s[2:3], 0, v7, s[2:3]
	s_waitcnt vmcnt(0) lgkmcnt(0)
	flat_store_dwordx4 v[6:7], v[11:14] glc slc
	flat_store_dwordx4 v[6:7], v[15:18] offset:1024 glc slc
	flat_store_dwordx4 v[6:7], v[19:22] offset:2048 glc slc
	;; [unrolled: 1-line block ×3, first 2 shown]
	v_add_co_u32_e32 v6, vcc, 0x8000, v6
	v_addc_co_u32_e32 v7, vcc, 0, v7, vcc
	flat_store_dwordx4 v[43:44], v[27:30] glc slc
	flat_store_dwordx4 v[43:44], v[31:34] offset:1024 glc slc
	flat_store_dwordx4 v[43:44], v[35:38] offset:2048 glc slc
	;; [unrolled: 1-line block ×3, first 2 shown]
	s_andn2_b64 exec, exec, s[16:17]
	s_cbranch_execnz .LBB1_12
.LBB1_13:
	s_or_b64 exec, exec, s[14:15]
	s_lshl_b32 s2, s19, 2
	s_cmp_eq_u32 s18, s2
	s_cbranch_scc1 .LBB1_21
; %bb.14:
	s_sub_i32 s16, s18, s2
	s_ashr_i32 s17, s16, 2
	v_cmp_gt_i32_e32 vcc, s17, v0
	s_and_saveexec_b64 s[4:5], vcc
	s_cbranch_execz .LBB1_17
; %bb.15:
	s_mov_b32 s3, 0
	s_lshl_b64 s[14:15], s[2:3], 2
	v_mov_b32_e32 v8, s15
	v_add_co_u32_e32 v6, vcc, s14, v3
	v_addc_co_u32_e32 v7, vcc, v4, v8, vcc
	v_lshlrev_b32_e32 v9, 4, v0
	v_add_co_u32_e32 v6, vcc, v6, v9
	v_addc_co_u32_e32 v7, vcc, 0, v7, vcc
	v_add_co_u32_e32 v10, vcc, s14, v1
	v_addc_co_u32_e32 v11, vcc, v2, v8, vcc
	;; [unrolled: 2-line block ×3, first 2 shown]
	s_mov_b64 s[14:15], 0
	v_mov_b32_e32 v10, v0
.LBB1_16:                               ; =>This Inner Loop Header: Depth=1
	flat_load_dwordx4 v[11:14], v[8:9] glc slc
	v_add_co_u32_e32 v8, vcc, 0x1000, v8
	v_add_u32_e32 v10, 0x100, v10
	v_addc_co_u32_e32 v9, vcc, 0, v9, vcc
	v_cmp_le_i32_e32 vcc, s17, v10
	s_or_b64 s[14:15], vcc, s[14:15]
	s_waitcnt vmcnt(0) lgkmcnt(0)
	flat_store_dwordx4 v[6:7], v[11:14]
	v_add_co_u32_e32 v6, vcc, 0x1000, v6
	v_addc_co_u32_e32 v7, vcc, 0, v7, vcc
	s_andn2_b64 exec, exec, s[14:15]
	s_cbranch_execnz .LBB1_16
.LBB1_17:
	s_or_b64 exec, exec, s[4:5]
	s_and_b32 s14, s18, 3
	s_cmp_eq_u32 s14, 0
	s_cbranch_scc1 .LBB1_22
; %bb.18:
	s_and_b32 s3, s16, -4
	s_add_i32 s2, s3, s2
	s_cbranch_execnz .LBB1_23
	s_branch .LBB1_30
.LBB1_19:
	s_mov_b64 s[8:9], 0
                                        ; implicit-def: $vgpr6
	s_branch .LBB1_10
.LBB1_20:
	s_mov_b32 s14, s18
	v_mov_b32_e32 v5, v6
	s_and_b64 vcc, exec, s[8:9]
	s_cbranch_vccnz .LBB1_23
	s_branch .LBB1_30
.LBB1_21:
                                        ; implicit-def: $sgpr14
.LBB1_22:
                                        ; implicit-def: $sgpr2
	s_and_b64 vcc, exec, s[8:9]
	s_cbranch_vccz .LBB1_30
.LBB1_23:
	s_and_b32 s15, s14, 0x7ffffe00
	v_cmp_gt_u32_e32 vcc, s15, v5
	s_and_saveexec_b64 s[4:5], vcc
	s_cbranch_execz .LBB1_26
; %bb.24:
	s_ashr_i32 s3, s2, 31
	s_lshl_b64 s[8:9], s[2:3], 2
	v_mov_b32_e32 v6, 0
	v_mov_b32_e32 v10, s9
	v_add_co_u32_e32 v7, vcc, s8, v3
	v_lshlrev_b64 v[8:9], 2, v[5:6]
	v_addc_co_u32_e32 v11, vcc, v4, v10, vcc
	v_add_co_u32_e32 v6, vcc, v7, v8
	v_addc_co_u32_e32 v7, vcc, v11, v9, vcc
	v_add_co_u32_e32 v11, vcc, s8, v1
	;; [unrolled: 2-line block ×3, first 2 shown]
	v_addc_co_u32_e32 v9, vcc, v10, v9, vcc
	s_mov_b64 s[8:9], 0
.LBB1_25:                               ; =>This Inner Loop Header: Depth=1
	flat_load_dword v10, v[8:9] glc slc
	flat_load_dword v11, v[8:9] offset:256 glc slc
	flat_load_dword v12, v[8:9] offset:512 glc slc
	;; [unrolled: 1-line block ×7, first 2 shown]
	v_add_co_u32_e32 v8, vcc, 0x2000, v8
	v_add_u32_e32 v5, 0x800, v5
	v_addc_co_u32_e32 v9, vcc, 0, v9, vcc
	v_cmp_le_u32_e32 vcc, s15, v5
	s_or_b64 s[8:9], vcc, s[8:9]
	s_waitcnt vmcnt(0) lgkmcnt(0)
	flat_store_dword v[6:7], v10 glc slc
	flat_store_dword v[6:7], v11 offset:256 glc slc
	flat_store_dword v[6:7], v12 offset:512 glc slc
	;; [unrolled: 1-line block ×7, first 2 shown]
	v_add_co_u32_e32 v6, vcc, 0x2000, v6
	v_addc_co_u32_e32 v7, vcc, 0, v7, vcc
	s_andn2_b64 exec, exec, s[8:9]
	s_cbranch_execnz .LBB1_25
.LBB1_26:
	s_or_b64 exec, exec, s[4:5]
	s_and_b32 s8, s14, 0x1ff
	s_cmp_lg_u32 s8, 0
	s_cselect_b64 s[4:5], -1, 0
	v_cmp_gt_u32_e32 vcc, s8, v0
	s_and_b64 s[16:17], s[4:5], vcc
	s_and_saveexec_b64 s[4:5], s[16:17]
	s_cbranch_execz .LBB1_29
; %bb.27:
	s_add_i32 s2, s15, s2
	s_ashr_i32 s3, s2, 31
	s_lshl_b64 s[2:3], s[2:3], 2
	v_mov_b32_e32 v5, s3
	v_add_co_u32_e32 v3, vcc, s2, v3
	v_addc_co_u32_e32 v4, vcc, v4, v5, vcc
	v_lshlrev_b32_e32 v6, 2, v0
	v_add_co_u32_e32 v3, vcc, v3, v6
	v_addc_co_u32_e32 v4, vcc, 0, v4, vcc
	v_add_co_u32_e32 v1, vcc, s2, v1
	v_addc_co_u32_e32 v2, vcc, v2, v5, vcc
	;; [unrolled: 2-line block ×3, first 2 shown]
	s_mov_b64 s[2:3], 0
.LBB1_28:                               ; =>This Inner Loop Header: Depth=1
	flat_load_dword v5, v[1:2] glc slc
	v_add_co_u32_e32 v1, vcc, 0x400, v1
	v_add_u32_e32 v0, 0x100, v0
	v_addc_co_u32_e32 v2, vcc, 0, v2, vcc
	v_cmp_le_u32_e32 vcc, s8, v0
	s_or_b64 s[2:3], vcc, s[2:3]
	s_waitcnt vmcnt(0) lgkmcnt(0)
	flat_store_dword v[3:4], v5 glc slc
	v_add_co_u32_e32 v3, vcc, 0x400, v3
	v_addc_co_u32_e32 v4, vcc, 0, v4, vcc
	s_andn2_b64 exec, exec, s[2:3]
	s_cbranch_execnz .LBB1_28
.LBB1_29:
	s_or_b64 exec, exec, s[4:5]
.LBB1_30:
	s_waitcnt vmcnt(0) lgkmcnt(0)
	s_barrier
	s_and_saveexec_b64 s[2:3], s[0:1]
	s_cbranch_execz .LBB1_35
; %bb.31:
	s_lshl_b64 s[0:1], s[6:7], 3
	s_memrealtime s[6:7]
	s_mov_b64 s[4:5], exec
	v_mbcnt_lo_u32_b32 v0, s4, 0
	s_add_u32 s0, s10, s0
	v_mbcnt_hi_u32_b32 v0, s5, v0
	s_addc_u32 s1, s11, s1
	v_cmp_eq_u32_e32 vcc, 0, v0
	s_and_saveexec_b64 s[2:3], vcc
	s_cbranch_execz .LBB1_33
; %bb.32:
	s_waitcnt lgkmcnt(0)
	s_sub_u32 s6, s6, s12
	s_subb_u32 s7, s7, s13
	s_bcnt1_i32_b64 s4, s[4:5]
	s_mul_i32 s7, s7, s4
	s_mul_hi_u32 s5, s6, s4
	s_add_i32 s5, s5, s7
	s_mul_i32 s6, s6, s4
	v_mov_b32_e32 v0, s6
	v_mov_b32_e32 v1, s5
	;; [unrolled: 1-line block ×3, first 2 shown]
	global_atomic_add_x2 v2, v[0:1], s[0:1]
	s_waitcnt vmcnt(0)
	buffer_wbinvl1_vol
.LBB1_33:
	s_or_b64 exec, exec, s[2:3]
	s_mov_b64 s[2:3], exec
	v_mbcnt_lo_u32_b32 v0, s2, 0
	v_mbcnt_hi_u32_b32 v0, s3, v0
	v_cmp_eq_u32_e32 vcc, 0, v0
	s_and_b64 s[4:5], exec, vcc
	s_mov_b64 exec, s[4:5]
	s_cbranch_execz .LBB1_35
; %bb.34:
	s_bcnt1_i32_b64 s2, s[2:3]
	s_mul_hi_i32 s3, s18, s2
	s_mul_i32 s2, s18, s2
	s_lshl_b64 s[2:3], s[2:3], 2
	v_mov_b32_e32 v0, s2
	v_mov_b32_e32 v2, 0
	;; [unrolled: 1-line block ×3, first 2 shown]
	s_waitcnt lgkmcnt(0)
	global_atomic_add_x2 v2, v[0:1], s[0:1] offset:448
	s_waitcnt vmcnt(0)
	buffer_wbinvl1_vol
.LBB1_35:
	s_endpgm
	.section	.rodata,"a",@progbits
	.p2align	6, 0x0
	.amdhsa_kernel _Z16flag_sync_kernelILi0ELi0EEvP15transfer_data_tP16profiling_data_tm
		.amdhsa_group_segment_fixed_size 0
		.amdhsa_private_segment_fixed_size 0
		.amdhsa_kernarg_size 24
		.amdhsa_user_sgpr_count 6
		.amdhsa_user_sgpr_private_segment_buffer 1
		.amdhsa_user_sgpr_dispatch_ptr 0
		.amdhsa_user_sgpr_queue_ptr 0
		.amdhsa_user_sgpr_kernarg_segment_ptr 1
		.amdhsa_user_sgpr_dispatch_id 0
		.amdhsa_user_sgpr_flat_scratch_init 0
		.amdhsa_user_sgpr_private_segment_size 0
		.amdhsa_uses_dynamic_stack 0
		.amdhsa_system_sgpr_private_segment_wavefront_offset 0
		.amdhsa_system_sgpr_workgroup_id_x 1
		.amdhsa_system_sgpr_workgroup_id_y 0
		.amdhsa_system_sgpr_workgroup_id_z 0
		.amdhsa_system_sgpr_workgroup_info 0
		.amdhsa_system_vgpr_workitem_id 0
		.amdhsa_next_free_vgpr 45
		.amdhsa_next_free_sgpr 28
		.amdhsa_reserve_vcc 1
		.amdhsa_reserve_flat_scratch 0
		.amdhsa_float_round_mode_32 0
		.amdhsa_float_round_mode_16_64 0
		.amdhsa_float_denorm_mode_32 3
		.amdhsa_float_denorm_mode_16_64 3
		.amdhsa_dx10_clamp 1
		.amdhsa_ieee_mode 1
		.amdhsa_fp16_overflow 0
		.amdhsa_exception_fp_ieee_invalid_op 0
		.amdhsa_exception_fp_denorm_src 0
		.amdhsa_exception_fp_ieee_div_zero 0
		.amdhsa_exception_fp_ieee_overflow 0
		.amdhsa_exception_fp_ieee_underflow 0
		.amdhsa_exception_fp_ieee_inexact 0
		.amdhsa_exception_int_div_zero 0
	.end_amdhsa_kernel
	.section	.text._Z16flag_sync_kernelILi0ELi0EEvP15transfer_data_tP16profiling_data_tm,"axG",@progbits,_Z16flag_sync_kernelILi0ELi0EEvP15transfer_data_tP16profiling_data_tm,comdat
.Lfunc_end1:
	.size	_Z16flag_sync_kernelILi0ELi0EEvP15transfer_data_tP16profiling_data_tm, .Lfunc_end1-_Z16flag_sync_kernelILi0ELi0EEvP15transfer_data_tP16profiling_data_tm
                                        ; -- End function
	.set _Z16flag_sync_kernelILi0ELi0EEvP15transfer_data_tP16profiling_data_tm.num_vgpr, 45
	.set _Z16flag_sync_kernelILi0ELi0EEvP15transfer_data_tP16profiling_data_tm.num_agpr, 0
	.set _Z16flag_sync_kernelILi0ELi0EEvP15transfer_data_tP16profiling_data_tm.numbered_sgpr, 28
	.set _Z16flag_sync_kernelILi0ELi0EEvP15transfer_data_tP16profiling_data_tm.num_named_barrier, 0
	.set _Z16flag_sync_kernelILi0ELi0EEvP15transfer_data_tP16profiling_data_tm.private_seg_size, 0
	.set _Z16flag_sync_kernelILi0ELi0EEvP15transfer_data_tP16profiling_data_tm.uses_vcc, 1
	.set _Z16flag_sync_kernelILi0ELi0EEvP15transfer_data_tP16profiling_data_tm.uses_flat_scratch, 0
	.set _Z16flag_sync_kernelILi0ELi0EEvP15transfer_data_tP16profiling_data_tm.has_dyn_sized_stack, 0
	.set _Z16flag_sync_kernelILi0ELi0EEvP15transfer_data_tP16profiling_data_tm.has_recursion, 0
	.set _Z16flag_sync_kernelILi0ELi0EEvP15transfer_data_tP16profiling_data_tm.has_indirect_call, 0
	.section	.AMDGPU.csdata,"",@progbits
; Kernel info:
; codeLenInByte = 1520
; TotalNumSgprs: 32
; NumVgprs: 45
; ScratchSize: 0
; MemoryBound: 0
; FloatMode: 240
; IeeeMode: 1
; LDSByteSize: 0 bytes/workgroup (compile time only)
; SGPRBlocks: 3
; VGPRBlocks: 11
; NumSGPRsForWavesPerEU: 32
; NumVGPRsForWavesPerEU: 45
; Occupancy: 5
; WaveLimiterHint : 1
; COMPUTE_PGM_RSRC2:SCRATCH_EN: 0
; COMPUTE_PGM_RSRC2:USER_SGPR: 6
; COMPUTE_PGM_RSRC2:TRAP_HANDLER: 0
; COMPUTE_PGM_RSRC2:TGID_X_EN: 1
; COMPUTE_PGM_RSRC2:TGID_Y_EN: 0
; COMPUTE_PGM_RSRC2:TGID_Z_EN: 0
; COMPUTE_PGM_RSRC2:TIDIG_COMP_CNT: 0
	.section	.text._Z16flag_sync_kernelILi0ELi1EEvP15transfer_data_tP16profiling_data_tm,"axG",@progbits,_Z16flag_sync_kernelILi0ELi1EEvP15transfer_data_tP16profiling_data_tm,comdat
	.protected	_Z16flag_sync_kernelILi0ELi1EEvP15transfer_data_tP16profiling_data_tm ; -- Begin function _Z16flag_sync_kernelILi0ELi1EEvP15transfer_data_tP16profiling_data_tm
	.globl	_Z16flag_sync_kernelILi0ELi1EEvP15transfer_data_tP16profiling_data_tm
	.p2align	8
	.type	_Z16flag_sync_kernelILi0ELi1EEvP15transfer_data_tP16profiling_data_tm,@function
_Z16flag_sync_kernelILi0ELi1EEvP15transfer_data_tP16profiling_data_tm: ; @_Z16flag_sync_kernelILi0ELi1EEvP15transfer_data_tP16profiling_data_tm
; %bb.0:
	s_mov_b64 s[26:27], s[2:3]
	s_mov_b64 s[24:25], s[0:1]
	s_load_dwordx4 s[8:11], s[4:5], 0x0
	s_load_dwordx2 s[2:3], s[4:5], 0x10
	s_add_u32 s24, s24, s7
	s_addc_u32 s25, s25, 0
	v_cmp_eq_u32_e64 s[0:1], 0, v0
	s_waitcnt lgkmcnt(0)
	s_load_dword s18, s[8:9], 0x8c0
	s_and_saveexec_b64 s[4:5], s[0:1]
	s_cbranch_execz .LBB2_10
; %bb.1:
	s_load_dword s12, s[8:9], 0x8c4
	s_load_dwordx2 s[16:17], s[8:9], 0x8d0
	s_mov_b64 s[14:15], src_private_base
	s_waitcnt lgkmcnt(0)
	s_ashr_i32 s13, s12, 31
	s_lshl_b64 s[12:13], s[12:13], 3
	s_add_u32 s12, s16, s12
	s_addc_u32 s13, s17, s13
	s_cmp_eq_u32 s13, s15
	s_cselect_b64 s[14:15], -1, 0
	s_andn2_b64 vcc, exec, s[14:15]
	s_mov_b64 s[14:15], -1
	s_cbranch_vccz .LBB2_3
; %bb.2:
	v_mov_b32_e32 v1, 1
	v_mov_b32_e32 v3, s12
	;; [unrolled: 1-line block ×4, first 2 shown]
	flat_atomic_add_x2 v[3:4], v[1:2]
	s_waitcnt vmcnt(0) lgkmcnt(0)
	buffer_wbinvl1_vol
	s_mov_b64 s[14:15], 0
.LBB2_3:
	s_andn2_b64 vcc, exec, s[14:15]
	s_cbranch_vccnz .LBB2_5
; %bb.4:
	s_cmp_lg_u64 s[12:13], 0
	s_cselect_b32 s7, s12, -1
	v_mov_b32_e32 v1, s7
	buffer_load_dword v2, v1, s[24:27], 0 offen
	buffer_load_dword v3, v1, s[24:27], 0 offen offset:4
	s_waitcnt vmcnt(1)
	v_add_co_u32_e32 v2, vcc, 1, v2
	s_waitcnt vmcnt(0)
	v_addc_co_u32_e32 v3, vcc, 0, v3, vcc
	buffer_store_dword v2, v1, s[24:27], 0 offen
	buffer_store_dword v3, v1, s[24:27], 0 offen offset:4
.LBB2_5:
	v_mov_b32_e32 v1, 0
	global_load_dword v2, v1, s[8:9] offset:2248
	s_waitcnt vmcnt(0)
	v_cmp_gt_i32_e32 vcc, 1, v2
	s_cbranch_vccnz .LBB2_10
; %bb.6:
	s_mov_b32 s13, 0
	s_mov_b32 s12, s13
.LBB2_7:                                ; =>This Loop Header: Depth=1
                                        ;     Child Loop BB2_8 Depth 2
	s_lshl_b64 s[16:17], s[12:13], 3
	s_mov_b64 s[14:15], 0
	v_mov_b32_e32 v2, s17
.LBB2_8:                                ;   Parent Loop BB2_7 Depth=1
                                        ; =>  This Inner Loop Header: Depth=2
	global_load_dwordx2 v[3:4], v1, s[8:9] offset:2256
	s_waitcnt vmcnt(0)
	v_add_co_u32_e32 v3, vcc, s16, v3
	v_addc_co_u32_e32 v4, vcc, v4, v2, vcc
	flat_load_dwordx2 v[3:4], v[3:4] glc
	s_waitcnt vmcnt(0) lgkmcnt(0)
	buffer_wbinvl1_vol
	v_cmp_le_u64_e32 vcc, s[2:3], v[3:4]
	s_or_b64 s[14:15], vcc, s[14:15]
	s_andn2_b64 exec, exec, s[14:15]
	s_cbranch_execnz .LBB2_8
; %bb.9:                                ;   in Loop: Header=BB2_7 Depth=1
	s_or_b64 exec, exec, s[14:15]
	global_load_dword v2, v1, s[8:9] offset:2248
	s_add_i32 s12, s12, 1
	s_waitcnt vmcnt(0)
	v_cmp_lt_i32_e32 vcc, s12, v2
	s_cbranch_vccnz .LBB2_7
.LBB2_10:
	s_or_b64 exec, exec, s[4:5]
	s_waitcnt lgkmcnt(0)
	s_barrier
                                        ; implicit-def: $sgpr12_sgpr13
	s_and_saveexec_b64 s[2:3], s[0:1]
; %bb.11:
	s_memrealtime s[12:13]
; %bb.12:
	s_or_b64 exec, exec, s[2:3]
	s_ashr_i32 s7, s6, 31
	s_cmp_lt_i32 s18, 1
	s_cbranch_scc1 .LBB2_35
; %bb.13:
	s_lshl_b64 s[2:3], s[6:7], 3
	s_add_u32 s2, s8, s2
	s_addc_u32 s3, s9, s3
	v_mov_b32_e32 v5, 0
	global_load_dwordx2 v[1:2], v5, s[2:3] offset:448
	global_load_dwordx2 v[3:4], v5, s[2:3]
	v_lshrrev_b32_e32 v6, 6, v0
	v_and_b32_e32 v7, 63, v0
	s_mov_b32 s2, 0
	s_waitcnt vmcnt(0)
	v_or_b32_e32 v5, v3, v1
	v_and_b32_e32 v5, 3, v5
	v_cmp_eq_u32_e32 vcc, 0, v5
	v_lshl_or_b32 v5, v6, 9, v7
	s_cbranch_vccnz .LBB2_24
; %bb.14:
	v_lshl_or_b32 v6, v6, 9, v7
	s_mov_b64 s[8:9], -1
	s_cbranch_execnz .LBB2_25
.LBB2_15:
	s_lshr_b32 s2, s18, 2
	s_and_b32 s19, s2, 0x1ffffe00
	v_cmp_gt_u32_e32 vcc, s19, v5
	s_and_saveexec_b64 s[14:15], vcc
	s_cbranch_execz .LBB2_18
; %bb.16:
	v_lshlrev_b32_e32 v8, 4, v5
	v_add_co_u32_e32 v6, vcc, v3, v8
	v_addc_co_u32_e32 v7, vcc, 0, v4, vcc
	v_add_co_u32_e32 v8, vcc, v1, v8
	v_addc_co_u32_e32 v9, vcc, 0, v2, vcc
	s_mov_b64 s[16:17], 0
	s_movk_i32 s20, 0x1000
	v_mov_b32_e32 v10, v5
.LBB2_17:                               ; =>This Inner Loop Header: Depth=1
	v_add_co_u32_e32 v39, vcc, 0x1000, v8
	s_mov_b64 s[2:3], vcc
	flat_load_dwordx4 v[11:14], v[8:9] glc slc
	flat_load_dwordx4 v[15:18], v[8:9] offset:1024 glc slc
	flat_load_dwordx4 v[19:22], v[8:9] offset:2048 glc slc
	;; [unrolled: 1-line block ×3, first 2 shown]
	v_mov_b32_e32 v27, v39
	v_addc_co_u32_e64 v28, s[2:3], 0, v9, s[2:3]
	v_addc_co_u32_e32 v40, vcc, 0, v9, vcc
	flat_load_dwordx4 v[27:30], v[27:28] glc slc
	s_nop 0
	flat_load_dwordx4 v[31:34], v[39:40] offset:1024 glc slc
	flat_load_dwordx4 v[35:38], v[39:40] offset:2048 glc slc
	s_nop 0
	flat_load_dwordx4 v[39:42], v[39:40] offset:3072 glc slc
	v_add_co_u32_e32 v43, vcc, s20, v6
	s_mov_b64 s[2:3], vcc
	v_add_co_u32_e32 v8, vcc, 0x8000, v8
	v_add_u32_e32 v10, 0x800, v10
	v_addc_co_u32_e32 v9, vcc, 0, v9, vcc
	v_cmp_le_u32_e64 s[4:5], s19, v10
	s_or_b64 s[16:17], s[4:5], s[16:17]
	v_addc_co_u32_e64 v44, s[2:3], 0, v7, s[2:3]
	s_waitcnt vmcnt(0) lgkmcnt(0)
	flat_store_dwordx4 v[6:7], v[11:14] glc slc
	flat_store_dwordx4 v[6:7], v[15:18] offset:1024 glc slc
	flat_store_dwordx4 v[6:7], v[19:22] offset:2048 glc slc
	flat_store_dwordx4 v[6:7], v[23:26] offset:3072 glc slc
	v_add_co_u32_e32 v6, vcc, 0x8000, v6
	v_addc_co_u32_e32 v7, vcc, 0, v7, vcc
	flat_store_dwordx4 v[43:44], v[27:30] glc slc
	flat_store_dwordx4 v[43:44], v[31:34] offset:1024 glc slc
	flat_store_dwordx4 v[43:44], v[35:38] offset:2048 glc slc
	;; [unrolled: 1-line block ×3, first 2 shown]
	s_andn2_b64 exec, exec, s[16:17]
	s_cbranch_execnz .LBB2_17
.LBB2_18:
	s_or_b64 exec, exec, s[14:15]
	s_lshl_b32 s2, s19, 2
	s_cmp_eq_u32 s18, s2
	s_cbranch_scc1 .LBB2_26
; %bb.19:
	s_sub_i32 s16, s18, s2
	s_ashr_i32 s17, s16, 2
	v_cmp_gt_i32_e32 vcc, s17, v0
	s_and_saveexec_b64 s[4:5], vcc
	s_cbranch_execz .LBB2_22
; %bb.20:
	s_mov_b32 s3, 0
	s_lshl_b64 s[14:15], s[2:3], 2
	v_mov_b32_e32 v8, s15
	v_add_co_u32_e32 v6, vcc, s14, v3
	v_addc_co_u32_e32 v7, vcc, v4, v8, vcc
	v_lshlrev_b32_e32 v9, 4, v0
	v_add_co_u32_e32 v6, vcc, v6, v9
	v_addc_co_u32_e32 v7, vcc, 0, v7, vcc
	v_add_co_u32_e32 v10, vcc, s14, v1
	v_addc_co_u32_e32 v11, vcc, v2, v8, vcc
	;; [unrolled: 2-line block ×3, first 2 shown]
	s_mov_b64 s[14:15], 0
	v_mov_b32_e32 v10, v0
.LBB2_21:                               ; =>This Inner Loop Header: Depth=1
	flat_load_dwordx4 v[11:14], v[8:9] glc slc
	v_add_co_u32_e32 v8, vcc, 0x1000, v8
	v_add_u32_e32 v10, 0x100, v10
	v_addc_co_u32_e32 v9, vcc, 0, v9, vcc
	v_cmp_le_i32_e32 vcc, s17, v10
	s_or_b64 s[14:15], vcc, s[14:15]
	s_waitcnt vmcnt(0) lgkmcnt(0)
	flat_store_dwordx4 v[6:7], v[11:14]
	v_add_co_u32_e32 v6, vcc, 0x1000, v6
	v_addc_co_u32_e32 v7, vcc, 0, v7, vcc
	s_andn2_b64 exec, exec, s[14:15]
	s_cbranch_execnz .LBB2_21
.LBB2_22:
	s_or_b64 exec, exec, s[4:5]
	s_and_b32 s14, s18, 3
	s_cmp_eq_u32 s14, 0
	s_cbranch_scc1 .LBB2_27
; %bb.23:
	s_and_b32 s3, s16, -4
	s_add_i32 s2, s3, s2
	s_cbranch_execnz .LBB2_28
	s_branch .LBB2_35
.LBB2_24:
	s_mov_b64 s[8:9], 0
                                        ; implicit-def: $vgpr6
	s_branch .LBB2_15
.LBB2_25:
	s_mov_b32 s14, s18
	v_mov_b32_e32 v5, v6
	s_and_b64 vcc, exec, s[8:9]
	s_cbranch_vccnz .LBB2_28
	s_branch .LBB2_35
.LBB2_26:
                                        ; implicit-def: $sgpr14
.LBB2_27:
                                        ; implicit-def: $sgpr2
	s_and_b64 vcc, exec, s[8:9]
	s_cbranch_vccz .LBB2_35
.LBB2_28:
	s_and_b32 s15, s14, 0x7ffffe00
	v_cmp_gt_u32_e32 vcc, s15, v5
	s_and_saveexec_b64 s[4:5], vcc
	s_cbranch_execz .LBB2_31
; %bb.29:
	s_ashr_i32 s3, s2, 31
	s_lshl_b64 s[8:9], s[2:3], 2
	v_mov_b32_e32 v6, 0
	v_mov_b32_e32 v10, s9
	v_add_co_u32_e32 v7, vcc, s8, v3
	v_lshlrev_b64 v[8:9], 2, v[5:6]
	v_addc_co_u32_e32 v11, vcc, v4, v10, vcc
	v_add_co_u32_e32 v6, vcc, v7, v8
	v_addc_co_u32_e32 v7, vcc, v11, v9, vcc
	v_add_co_u32_e32 v11, vcc, s8, v1
	;; [unrolled: 2-line block ×3, first 2 shown]
	v_addc_co_u32_e32 v9, vcc, v10, v9, vcc
	s_mov_b64 s[8:9], 0
.LBB2_30:                               ; =>This Inner Loop Header: Depth=1
	flat_load_dword v10, v[8:9] glc slc
	flat_load_dword v11, v[8:9] offset:256 glc slc
	flat_load_dword v12, v[8:9] offset:512 glc slc
	;; [unrolled: 1-line block ×7, first 2 shown]
	v_add_co_u32_e32 v8, vcc, 0x2000, v8
	v_add_u32_e32 v5, 0x800, v5
	v_addc_co_u32_e32 v9, vcc, 0, v9, vcc
	v_cmp_le_u32_e32 vcc, s15, v5
	s_or_b64 s[8:9], vcc, s[8:9]
	s_waitcnt vmcnt(0) lgkmcnt(0)
	flat_store_dword v[6:7], v10 glc slc
	flat_store_dword v[6:7], v11 offset:256 glc slc
	flat_store_dword v[6:7], v12 offset:512 glc slc
	;; [unrolled: 1-line block ×7, first 2 shown]
	v_add_co_u32_e32 v6, vcc, 0x2000, v6
	v_addc_co_u32_e32 v7, vcc, 0, v7, vcc
	s_andn2_b64 exec, exec, s[8:9]
	s_cbranch_execnz .LBB2_30
.LBB2_31:
	s_or_b64 exec, exec, s[4:5]
	s_and_b32 s8, s14, 0x1ff
	s_cmp_lg_u32 s8, 0
	s_cselect_b64 s[4:5], -1, 0
	v_cmp_gt_u32_e32 vcc, s8, v0
	s_and_b64 s[16:17], s[4:5], vcc
	s_and_saveexec_b64 s[4:5], s[16:17]
	s_cbranch_execz .LBB2_34
; %bb.32:
	s_add_i32 s2, s15, s2
	s_ashr_i32 s3, s2, 31
	s_lshl_b64 s[2:3], s[2:3], 2
	v_mov_b32_e32 v5, s3
	v_add_co_u32_e32 v3, vcc, s2, v3
	v_addc_co_u32_e32 v4, vcc, v4, v5, vcc
	v_lshlrev_b32_e32 v6, 2, v0
	v_add_co_u32_e32 v3, vcc, v3, v6
	v_addc_co_u32_e32 v4, vcc, 0, v4, vcc
	v_add_co_u32_e32 v1, vcc, s2, v1
	v_addc_co_u32_e32 v2, vcc, v2, v5, vcc
	v_add_co_u32_e32 v1, vcc, v1, v6
	v_addc_co_u32_e32 v2, vcc, 0, v2, vcc
	s_mov_b64 s[2:3], 0
.LBB2_33:                               ; =>This Inner Loop Header: Depth=1
	flat_load_dword v5, v[1:2] glc slc
	v_add_co_u32_e32 v1, vcc, 0x400, v1
	v_add_u32_e32 v0, 0x100, v0
	v_addc_co_u32_e32 v2, vcc, 0, v2, vcc
	v_cmp_le_u32_e32 vcc, s8, v0
	s_or_b64 s[2:3], vcc, s[2:3]
	s_waitcnt vmcnt(0) lgkmcnt(0)
	flat_store_dword v[3:4], v5 glc slc
	v_add_co_u32_e32 v3, vcc, 0x400, v3
	v_addc_co_u32_e32 v4, vcc, 0, v4, vcc
	s_andn2_b64 exec, exec, s[2:3]
	s_cbranch_execnz .LBB2_33
.LBB2_34:
	s_or_b64 exec, exec, s[4:5]
.LBB2_35:
	s_waitcnt vmcnt(0) lgkmcnt(0)
	s_barrier
	s_and_saveexec_b64 s[2:3], s[0:1]
	s_cbranch_execz .LBB2_40
; %bb.36:
	s_lshl_b64 s[0:1], s[6:7], 3
	s_memrealtime s[6:7]
	s_mov_b64 s[4:5], exec
	v_mbcnt_lo_u32_b32 v0, s4, 0
	s_add_u32 s0, s10, s0
	v_mbcnt_hi_u32_b32 v0, s5, v0
	s_addc_u32 s1, s11, s1
	v_cmp_eq_u32_e32 vcc, 0, v0
	s_and_saveexec_b64 s[2:3], vcc
	s_cbranch_execz .LBB2_38
; %bb.37:
	s_waitcnt lgkmcnt(0)
	s_sub_u32 s6, s6, s12
	s_subb_u32 s7, s7, s13
	s_bcnt1_i32_b64 s4, s[4:5]
	s_mul_i32 s7, s7, s4
	s_mul_hi_u32 s5, s6, s4
	s_add_i32 s5, s5, s7
	s_mul_i32 s6, s6, s4
	v_mov_b32_e32 v0, s6
	v_mov_b32_e32 v1, s5
	;; [unrolled: 1-line block ×3, first 2 shown]
	global_atomic_add_x2 v2, v[0:1], s[0:1]
	s_waitcnt vmcnt(0)
	buffer_wbinvl1_vol
.LBB2_38:
	s_or_b64 exec, exec, s[2:3]
	s_mov_b64 s[2:3], exec
	v_mbcnt_lo_u32_b32 v0, s2, 0
	v_mbcnt_hi_u32_b32 v0, s3, v0
	v_cmp_eq_u32_e32 vcc, 0, v0
	s_and_b64 s[4:5], exec, vcc
	s_mov_b64 exec, s[4:5]
	s_cbranch_execz .LBB2_40
; %bb.39:
	s_bcnt1_i32_b64 s2, s[2:3]
	s_mul_hi_i32 s3, s18, s2
	s_mul_i32 s2, s18, s2
	s_lshl_b64 s[2:3], s[2:3], 2
	v_mov_b32_e32 v0, s2
	v_mov_b32_e32 v2, 0
	;; [unrolled: 1-line block ×3, first 2 shown]
	s_waitcnt lgkmcnt(0)
	global_atomic_add_x2 v2, v[0:1], s[0:1] offset:448
	s_waitcnt vmcnt(0)
	buffer_wbinvl1_vol
.LBB2_40:
	s_endpgm
	.section	.rodata,"a",@progbits
	.p2align	6, 0x0
	.amdhsa_kernel _Z16flag_sync_kernelILi0ELi1EEvP15transfer_data_tP16profiling_data_tm
		.amdhsa_group_segment_fixed_size 0
		.amdhsa_private_segment_fixed_size 0
		.amdhsa_kernarg_size 24
		.amdhsa_user_sgpr_count 6
		.amdhsa_user_sgpr_private_segment_buffer 1
		.amdhsa_user_sgpr_dispatch_ptr 0
		.amdhsa_user_sgpr_queue_ptr 0
		.amdhsa_user_sgpr_kernarg_segment_ptr 1
		.amdhsa_user_sgpr_dispatch_id 0
		.amdhsa_user_sgpr_flat_scratch_init 0
		.amdhsa_user_sgpr_private_segment_size 0
		.amdhsa_uses_dynamic_stack 0
		.amdhsa_system_sgpr_private_segment_wavefront_offset 0
		.amdhsa_system_sgpr_workgroup_id_x 1
		.amdhsa_system_sgpr_workgroup_id_y 0
		.amdhsa_system_sgpr_workgroup_id_z 0
		.amdhsa_system_sgpr_workgroup_info 0
		.amdhsa_system_vgpr_workitem_id 0
		.amdhsa_next_free_vgpr 45
		.amdhsa_next_free_sgpr 28
		.amdhsa_reserve_vcc 1
		.amdhsa_reserve_flat_scratch 0
		.amdhsa_float_round_mode_32 0
		.amdhsa_float_round_mode_16_64 0
		.amdhsa_float_denorm_mode_32 3
		.amdhsa_float_denorm_mode_16_64 3
		.amdhsa_dx10_clamp 1
		.amdhsa_ieee_mode 1
		.amdhsa_fp16_overflow 0
		.amdhsa_exception_fp_ieee_invalid_op 0
		.amdhsa_exception_fp_denorm_src 0
		.amdhsa_exception_fp_ieee_div_zero 0
		.amdhsa_exception_fp_ieee_overflow 0
		.amdhsa_exception_fp_ieee_underflow 0
		.amdhsa_exception_fp_ieee_inexact 0
		.amdhsa_exception_int_div_zero 0
	.end_amdhsa_kernel
	.section	.text._Z16flag_sync_kernelILi0ELi1EEvP15transfer_data_tP16profiling_data_tm,"axG",@progbits,_Z16flag_sync_kernelILi0ELi1EEvP15transfer_data_tP16profiling_data_tm,comdat
.Lfunc_end2:
	.size	_Z16flag_sync_kernelILi0ELi1EEvP15transfer_data_tP16profiling_data_tm, .Lfunc_end2-_Z16flag_sync_kernelILi0ELi1EEvP15transfer_data_tP16profiling_data_tm
                                        ; -- End function
	.set _Z16flag_sync_kernelILi0ELi1EEvP15transfer_data_tP16profiling_data_tm.num_vgpr, 45
	.set _Z16flag_sync_kernelILi0ELi1EEvP15transfer_data_tP16profiling_data_tm.num_agpr, 0
	.set _Z16flag_sync_kernelILi0ELi1EEvP15transfer_data_tP16profiling_data_tm.numbered_sgpr, 28
	.set _Z16flag_sync_kernelILi0ELi1EEvP15transfer_data_tP16profiling_data_tm.num_named_barrier, 0
	.set _Z16flag_sync_kernelILi0ELi1EEvP15transfer_data_tP16profiling_data_tm.private_seg_size, 0
	.set _Z16flag_sync_kernelILi0ELi1EEvP15transfer_data_tP16profiling_data_tm.uses_vcc, 1
	.set _Z16flag_sync_kernelILi0ELi1EEvP15transfer_data_tP16profiling_data_tm.uses_flat_scratch, 0
	.set _Z16flag_sync_kernelILi0ELi1EEvP15transfer_data_tP16profiling_data_tm.has_dyn_sized_stack, 0
	.set _Z16flag_sync_kernelILi0ELi1EEvP15transfer_data_tP16profiling_data_tm.has_recursion, 0
	.set _Z16flag_sync_kernelILi0ELi1EEvP15transfer_data_tP16profiling_data_tm.has_indirect_call, 0
	.section	.AMDGPU.csdata,"",@progbits
; Kernel info:
; codeLenInByte = 1656
; TotalNumSgprs: 32
; NumVgprs: 45
; ScratchSize: 0
; MemoryBound: 0
; FloatMode: 240
; IeeeMode: 1
; LDSByteSize: 0 bytes/workgroup (compile time only)
; SGPRBlocks: 3
; VGPRBlocks: 11
; NumSGPRsForWavesPerEU: 32
; NumVGPRsForWavesPerEU: 45
; Occupancy: 5
; WaveLimiterHint : 1
; COMPUTE_PGM_RSRC2:SCRATCH_EN: 0
; COMPUTE_PGM_RSRC2:USER_SGPR: 6
; COMPUTE_PGM_RSRC2:TRAP_HANDLER: 0
; COMPUTE_PGM_RSRC2:TGID_X_EN: 1
; COMPUTE_PGM_RSRC2:TGID_Y_EN: 0
; COMPUTE_PGM_RSRC2:TGID_Z_EN: 0
; COMPUTE_PGM_RSRC2:TIDIG_COMP_CNT: 0
	.section	.text._Z16flag_sync_kernelILi1ELi0EEvP15transfer_data_tP16profiling_data_tm,"axG",@progbits,_Z16flag_sync_kernelILi1ELi0EEvP15transfer_data_tP16profiling_data_tm,comdat
	.protected	_Z16flag_sync_kernelILi1ELi0EEvP15transfer_data_tP16profiling_data_tm ; -- Begin function _Z16flag_sync_kernelILi1ELi0EEvP15transfer_data_tP16profiling_data_tm
	.globl	_Z16flag_sync_kernelILi1ELi0EEvP15transfer_data_tP16profiling_data_tm
	.p2align	8
	.type	_Z16flag_sync_kernelILi1ELi0EEvP15transfer_data_tP16profiling_data_tm,@function
_Z16flag_sync_kernelILi1ELi0EEvP15transfer_data_tP16profiling_data_tm: ; @_Z16flag_sync_kernelILi1ELi0EEvP15transfer_data_tP16profiling_data_tm
; %bb.0:
	s_load_dwordx4 s[8:11], s[4:5], 0x0
	s_mov_b64 s[26:27], s[2:3]
	s_mov_b64 s[24:25], s[0:1]
	s_add_u32 s24, s24, s7
	s_addc_u32 s25, s25, 0
	s_waitcnt lgkmcnt(0)
	s_load_dword s18, s[8:9], 0x8c0
	v_cmp_eq_u32_e64 s[0:1], 0, v0
	s_and_saveexec_b64 s[2:3], s[0:1]
	s_cbranch_execz .LBB3_5
; %bb.1:
	s_load_dword s4, s[8:9], 0x8c4
	s_load_dwordx2 s[14:15], s[8:9], 0x8d0
	s_mov_b64 s[12:13], src_private_base
	s_waitcnt lgkmcnt(0)
	s_ashr_i32 s5, s4, 31
	s_lshl_b64 s[4:5], s[4:5], 3
	s_add_u32 s4, s14, s4
	s_addc_u32 s5, s15, s5
	s_cmp_eq_u32 s5, s13
	s_cselect_b64 s[12:13], -1, 0
	s_andn2_b64 vcc, exec, s[12:13]
	s_mov_b64 s[12:13], -1
	s_cbranch_vccz .LBB3_3
; %bb.2:
	v_mov_b32_e32 v1, 1
	v_mov_b32_e32 v3, s4
	;; [unrolled: 1-line block ×4, first 2 shown]
	flat_atomic_add_x2 v[3:4], v[1:2]
	s_waitcnt vmcnt(0) lgkmcnt(0)
	buffer_wbinvl1_vol
	s_mov_b64 s[12:13], 0
.LBB3_3:
	s_andn2_b64 vcc, exec, s[12:13]
	s_cbranch_vccnz .LBB3_5
; %bb.4:
	s_cmp_lg_u64 s[4:5], 0
	s_cselect_b32 s4, s4, -1
	v_mov_b32_e32 v1, s4
	buffer_load_dword v2, v1, s[24:27], 0 offen
	buffer_load_dword v3, v1, s[24:27], 0 offen offset:4
	s_waitcnt vmcnt(1)
	v_add_co_u32_e32 v2, vcc, 1, v2
	s_waitcnt vmcnt(0)
	v_addc_co_u32_e32 v3, vcc, 0, v3, vcc
	buffer_store_dword v2, v1, s[24:27], 0 offen
	buffer_store_dword v3, v1, s[24:27], 0 offen offset:4
.LBB3_5:
	s_or_b64 exec, exec, s[2:3]
	s_waitcnt vmcnt(0) lgkmcnt(0)
	s_barrier
                                        ; implicit-def: $sgpr12_sgpr13
	s_and_saveexec_b64 s[2:3], s[0:1]
; %bb.6:
	s_memrealtime s[12:13]
; %bb.7:
	s_or_b64 exec, exec, s[2:3]
	s_ashr_i32 s7, s6, 31
	s_cmp_lt_i32 s18, 1
	s_cbranch_scc1 .LBB3_30
; %bb.8:
	s_lshl_b64 s[2:3], s[6:7], 3
	s_add_u32 s2, s8, s2
	s_addc_u32 s3, s9, s3
	v_mov_b32_e32 v5, 0
	global_load_dwordx2 v[1:2], v5, s[2:3] offset:448
	global_load_dwordx2 v[3:4], v5, s[2:3] offset:896
	v_lshrrev_b32_e32 v6, 6, v0
	v_and_b32_e32 v7, 63, v0
	s_mov_b32 s2, 0
	s_waitcnt vmcnt(0)
	v_or_b32_e32 v5, v3, v1
	v_and_b32_e32 v5, 3, v5
	v_cmp_eq_u32_e32 vcc, 0, v5
	v_lshl_or_b32 v5, v6, 9, v7
	s_cbranch_vccnz .LBB3_19
; %bb.9:
	v_lshl_or_b32 v6, v6, 9, v7
	s_mov_b64 s[8:9], -1
	s_cbranch_execnz .LBB3_20
.LBB3_10:
	s_lshr_b32 s2, s18, 2
	s_and_b32 s19, s2, 0x1ffffe00
	v_cmp_gt_u32_e32 vcc, s19, v5
	s_and_saveexec_b64 s[14:15], vcc
	s_cbranch_execz .LBB3_13
; %bb.11:
	v_lshlrev_b32_e32 v8, 4, v5
	v_add_co_u32_e32 v6, vcc, v3, v8
	v_addc_co_u32_e32 v7, vcc, 0, v4, vcc
	v_add_co_u32_e32 v8, vcc, v1, v8
	v_addc_co_u32_e32 v9, vcc, 0, v2, vcc
	s_mov_b64 s[16:17], 0
	s_movk_i32 s20, 0x1000
	v_mov_b32_e32 v10, v5
.LBB3_12:                               ; =>This Inner Loop Header: Depth=1
	v_add_co_u32_e32 v39, vcc, 0x1000, v8
	s_mov_b64 s[2:3], vcc
	flat_load_dwordx4 v[11:14], v[8:9] glc slc
	flat_load_dwordx4 v[15:18], v[8:9] offset:1024 glc slc
	flat_load_dwordx4 v[19:22], v[8:9] offset:2048 glc slc
	;; [unrolled: 1-line block ×3, first 2 shown]
	v_mov_b32_e32 v27, v39
	v_addc_co_u32_e64 v28, s[2:3], 0, v9, s[2:3]
	v_addc_co_u32_e32 v40, vcc, 0, v9, vcc
	flat_load_dwordx4 v[27:30], v[27:28] glc slc
	s_nop 0
	flat_load_dwordx4 v[31:34], v[39:40] offset:1024 glc slc
	flat_load_dwordx4 v[35:38], v[39:40] offset:2048 glc slc
	s_nop 0
	flat_load_dwordx4 v[39:42], v[39:40] offset:3072 glc slc
	v_add_co_u32_e32 v43, vcc, s20, v6
	s_mov_b64 s[2:3], vcc
	v_add_co_u32_e32 v8, vcc, 0x8000, v8
	v_add_u32_e32 v10, 0x800, v10
	v_addc_co_u32_e32 v9, vcc, 0, v9, vcc
	v_cmp_le_u32_e64 s[4:5], s19, v10
	s_or_b64 s[16:17], s[4:5], s[16:17]
	v_addc_co_u32_e64 v44, s[2:3], 0, v7, s[2:3]
	s_waitcnt vmcnt(0) lgkmcnt(0)
	flat_store_dwordx4 v[6:7], v[11:14] glc slc
	flat_store_dwordx4 v[6:7], v[15:18] offset:1024 glc slc
	flat_store_dwordx4 v[6:7], v[19:22] offset:2048 glc slc
	;; [unrolled: 1-line block ×3, first 2 shown]
	v_add_co_u32_e32 v6, vcc, 0x8000, v6
	v_addc_co_u32_e32 v7, vcc, 0, v7, vcc
	flat_store_dwordx4 v[43:44], v[27:30] glc slc
	flat_store_dwordx4 v[43:44], v[31:34] offset:1024 glc slc
	flat_store_dwordx4 v[43:44], v[35:38] offset:2048 glc slc
	;; [unrolled: 1-line block ×3, first 2 shown]
	s_andn2_b64 exec, exec, s[16:17]
	s_cbranch_execnz .LBB3_12
.LBB3_13:
	s_or_b64 exec, exec, s[14:15]
	s_lshl_b32 s2, s19, 2
	s_cmp_eq_u32 s18, s2
	s_cbranch_scc1 .LBB3_21
; %bb.14:
	s_sub_i32 s16, s18, s2
	s_ashr_i32 s17, s16, 2
	v_cmp_gt_i32_e32 vcc, s17, v0
	s_and_saveexec_b64 s[4:5], vcc
	s_cbranch_execz .LBB3_17
; %bb.15:
	s_mov_b32 s3, 0
	s_lshl_b64 s[14:15], s[2:3], 2
	v_mov_b32_e32 v8, s15
	v_add_co_u32_e32 v6, vcc, s14, v3
	v_addc_co_u32_e32 v7, vcc, v4, v8, vcc
	v_lshlrev_b32_e32 v9, 4, v0
	v_add_co_u32_e32 v6, vcc, v6, v9
	v_addc_co_u32_e32 v7, vcc, 0, v7, vcc
	v_add_co_u32_e32 v10, vcc, s14, v1
	v_addc_co_u32_e32 v11, vcc, v2, v8, vcc
	;; [unrolled: 2-line block ×3, first 2 shown]
	s_mov_b64 s[14:15], 0
	v_mov_b32_e32 v10, v0
.LBB3_16:                               ; =>This Inner Loop Header: Depth=1
	flat_load_dwordx4 v[11:14], v[8:9] glc slc
	v_add_co_u32_e32 v8, vcc, 0x1000, v8
	v_add_u32_e32 v10, 0x100, v10
	v_addc_co_u32_e32 v9, vcc, 0, v9, vcc
	v_cmp_le_i32_e32 vcc, s17, v10
	s_or_b64 s[14:15], vcc, s[14:15]
	s_waitcnt vmcnt(0) lgkmcnt(0)
	flat_store_dwordx4 v[6:7], v[11:14]
	v_add_co_u32_e32 v6, vcc, 0x1000, v6
	v_addc_co_u32_e32 v7, vcc, 0, v7, vcc
	s_andn2_b64 exec, exec, s[14:15]
	s_cbranch_execnz .LBB3_16
.LBB3_17:
	s_or_b64 exec, exec, s[4:5]
	s_and_b32 s14, s18, 3
	s_cmp_eq_u32 s14, 0
	s_cbranch_scc1 .LBB3_22
; %bb.18:
	s_and_b32 s3, s16, -4
	s_add_i32 s2, s3, s2
	s_cbranch_execnz .LBB3_23
	s_branch .LBB3_30
.LBB3_19:
	s_mov_b64 s[8:9], 0
                                        ; implicit-def: $vgpr6
	s_branch .LBB3_10
.LBB3_20:
	s_mov_b32 s14, s18
	v_mov_b32_e32 v5, v6
	s_and_b64 vcc, exec, s[8:9]
	s_cbranch_vccnz .LBB3_23
	s_branch .LBB3_30
.LBB3_21:
                                        ; implicit-def: $sgpr14
.LBB3_22:
                                        ; implicit-def: $sgpr2
	s_and_b64 vcc, exec, s[8:9]
	s_cbranch_vccz .LBB3_30
.LBB3_23:
	s_and_b32 s15, s14, 0x7ffffe00
	v_cmp_gt_u32_e32 vcc, s15, v5
	s_and_saveexec_b64 s[4:5], vcc
	s_cbranch_execz .LBB3_26
; %bb.24:
	s_ashr_i32 s3, s2, 31
	s_lshl_b64 s[8:9], s[2:3], 2
	v_mov_b32_e32 v6, 0
	v_mov_b32_e32 v10, s9
	v_add_co_u32_e32 v7, vcc, s8, v3
	v_lshlrev_b64 v[8:9], 2, v[5:6]
	v_addc_co_u32_e32 v11, vcc, v4, v10, vcc
	v_add_co_u32_e32 v6, vcc, v7, v8
	v_addc_co_u32_e32 v7, vcc, v11, v9, vcc
	v_add_co_u32_e32 v11, vcc, s8, v1
	;; [unrolled: 2-line block ×3, first 2 shown]
	v_addc_co_u32_e32 v9, vcc, v10, v9, vcc
	s_mov_b64 s[8:9], 0
.LBB3_25:                               ; =>This Inner Loop Header: Depth=1
	flat_load_dword v10, v[8:9] glc slc
	flat_load_dword v11, v[8:9] offset:256 glc slc
	flat_load_dword v12, v[8:9] offset:512 glc slc
	;; [unrolled: 1-line block ×7, first 2 shown]
	v_add_co_u32_e32 v8, vcc, 0x2000, v8
	v_add_u32_e32 v5, 0x800, v5
	v_addc_co_u32_e32 v9, vcc, 0, v9, vcc
	v_cmp_le_u32_e32 vcc, s15, v5
	s_or_b64 s[8:9], vcc, s[8:9]
	s_waitcnt vmcnt(0) lgkmcnt(0)
	flat_store_dword v[6:7], v10 glc slc
	flat_store_dword v[6:7], v11 offset:256 glc slc
	flat_store_dword v[6:7], v12 offset:512 glc slc
	;; [unrolled: 1-line block ×7, first 2 shown]
	v_add_co_u32_e32 v6, vcc, 0x2000, v6
	v_addc_co_u32_e32 v7, vcc, 0, v7, vcc
	s_andn2_b64 exec, exec, s[8:9]
	s_cbranch_execnz .LBB3_25
.LBB3_26:
	s_or_b64 exec, exec, s[4:5]
	s_and_b32 s8, s14, 0x1ff
	s_cmp_lg_u32 s8, 0
	s_cselect_b64 s[4:5], -1, 0
	v_cmp_gt_u32_e32 vcc, s8, v0
	s_and_b64 s[16:17], s[4:5], vcc
	s_and_saveexec_b64 s[4:5], s[16:17]
	s_cbranch_execz .LBB3_29
; %bb.27:
	s_add_i32 s2, s15, s2
	s_ashr_i32 s3, s2, 31
	s_lshl_b64 s[2:3], s[2:3], 2
	v_mov_b32_e32 v5, s3
	v_add_co_u32_e32 v3, vcc, s2, v3
	v_addc_co_u32_e32 v4, vcc, v4, v5, vcc
	v_lshlrev_b32_e32 v6, 2, v0
	v_add_co_u32_e32 v3, vcc, v3, v6
	v_addc_co_u32_e32 v4, vcc, 0, v4, vcc
	v_add_co_u32_e32 v1, vcc, s2, v1
	v_addc_co_u32_e32 v2, vcc, v2, v5, vcc
	;; [unrolled: 2-line block ×3, first 2 shown]
	s_mov_b64 s[2:3], 0
.LBB3_28:                               ; =>This Inner Loop Header: Depth=1
	flat_load_dword v5, v[1:2] glc slc
	v_add_co_u32_e32 v1, vcc, 0x400, v1
	v_add_u32_e32 v0, 0x100, v0
	v_addc_co_u32_e32 v2, vcc, 0, v2, vcc
	v_cmp_le_u32_e32 vcc, s8, v0
	s_or_b64 s[2:3], vcc, s[2:3]
	s_waitcnt vmcnt(0) lgkmcnt(0)
	flat_store_dword v[3:4], v5 glc slc
	v_add_co_u32_e32 v3, vcc, 0x400, v3
	v_addc_co_u32_e32 v4, vcc, 0, v4, vcc
	s_andn2_b64 exec, exec, s[2:3]
	s_cbranch_execnz .LBB3_28
.LBB3_29:
	s_or_b64 exec, exec, s[4:5]
.LBB3_30:
	s_waitcnt vmcnt(0) lgkmcnt(0)
	s_barrier
	s_and_saveexec_b64 s[2:3], s[0:1]
	s_cbranch_execz .LBB3_35
; %bb.31:
	s_lshl_b64 s[0:1], s[6:7], 3
	s_memrealtime s[6:7]
	s_mov_b64 s[4:5], exec
	v_mbcnt_lo_u32_b32 v0, s4, 0
	s_add_u32 s0, s10, s0
	v_mbcnt_hi_u32_b32 v0, s5, v0
	s_addc_u32 s1, s11, s1
	v_cmp_eq_u32_e32 vcc, 0, v0
	s_and_saveexec_b64 s[2:3], vcc
	s_cbranch_execz .LBB3_33
; %bb.32:
	s_waitcnt lgkmcnt(0)
	s_sub_u32 s6, s6, s12
	s_subb_u32 s7, s7, s13
	s_bcnt1_i32_b64 s4, s[4:5]
	s_mul_i32 s7, s7, s4
	s_mul_hi_u32 s5, s6, s4
	s_add_i32 s5, s5, s7
	s_mul_i32 s6, s6, s4
	v_mov_b32_e32 v0, s6
	v_mov_b32_e32 v1, s5
	;; [unrolled: 1-line block ×3, first 2 shown]
	global_atomic_add_x2 v2, v[0:1], s[0:1]
	s_waitcnt vmcnt(0)
	buffer_wbinvl1_vol
.LBB3_33:
	s_or_b64 exec, exec, s[2:3]
	s_mov_b64 s[2:3], exec
	v_mbcnt_lo_u32_b32 v0, s2, 0
	v_mbcnt_hi_u32_b32 v0, s3, v0
	v_cmp_eq_u32_e32 vcc, 0, v0
	s_and_b64 s[4:5], exec, vcc
	s_mov_b64 exec, s[4:5]
	s_cbranch_execz .LBB3_35
; %bb.34:
	s_bcnt1_i32_b64 s2, s[2:3]
	s_mul_hi_i32 s3, s18, s2
	s_mul_i32 s2, s18, s2
	s_lshl_b64 s[2:3], s[2:3], 2
	v_mov_b32_e32 v0, s2
	v_mov_b32_e32 v2, 0
	;; [unrolled: 1-line block ×3, first 2 shown]
	s_waitcnt lgkmcnt(0)
	global_atomic_add_x2 v2, v[0:1], s[0:1] offset:448
	s_waitcnt vmcnt(0)
	buffer_wbinvl1_vol
.LBB3_35:
	s_endpgm
	.section	.rodata,"a",@progbits
	.p2align	6, 0x0
	.amdhsa_kernel _Z16flag_sync_kernelILi1ELi0EEvP15transfer_data_tP16profiling_data_tm
		.amdhsa_group_segment_fixed_size 0
		.amdhsa_private_segment_fixed_size 0
		.amdhsa_kernarg_size 24
		.amdhsa_user_sgpr_count 6
		.amdhsa_user_sgpr_private_segment_buffer 1
		.amdhsa_user_sgpr_dispatch_ptr 0
		.amdhsa_user_sgpr_queue_ptr 0
		.amdhsa_user_sgpr_kernarg_segment_ptr 1
		.amdhsa_user_sgpr_dispatch_id 0
		.amdhsa_user_sgpr_flat_scratch_init 0
		.amdhsa_user_sgpr_private_segment_size 0
		.amdhsa_uses_dynamic_stack 0
		.amdhsa_system_sgpr_private_segment_wavefront_offset 0
		.amdhsa_system_sgpr_workgroup_id_x 1
		.amdhsa_system_sgpr_workgroup_id_y 0
		.amdhsa_system_sgpr_workgroup_id_z 0
		.amdhsa_system_sgpr_workgroup_info 0
		.amdhsa_system_vgpr_workitem_id 0
		.amdhsa_next_free_vgpr 45
		.amdhsa_next_free_sgpr 28
		.amdhsa_reserve_vcc 1
		.amdhsa_reserve_flat_scratch 0
		.amdhsa_float_round_mode_32 0
		.amdhsa_float_round_mode_16_64 0
		.amdhsa_float_denorm_mode_32 3
		.amdhsa_float_denorm_mode_16_64 3
		.amdhsa_dx10_clamp 1
		.amdhsa_ieee_mode 1
		.amdhsa_fp16_overflow 0
		.amdhsa_exception_fp_ieee_invalid_op 0
		.amdhsa_exception_fp_denorm_src 0
		.amdhsa_exception_fp_ieee_div_zero 0
		.amdhsa_exception_fp_ieee_overflow 0
		.amdhsa_exception_fp_ieee_underflow 0
		.amdhsa_exception_fp_ieee_inexact 0
		.amdhsa_exception_int_div_zero 0
	.end_amdhsa_kernel
	.section	.text._Z16flag_sync_kernelILi1ELi0EEvP15transfer_data_tP16profiling_data_tm,"axG",@progbits,_Z16flag_sync_kernelILi1ELi0EEvP15transfer_data_tP16profiling_data_tm,comdat
.Lfunc_end3:
	.size	_Z16flag_sync_kernelILi1ELi0EEvP15transfer_data_tP16profiling_data_tm, .Lfunc_end3-_Z16flag_sync_kernelILi1ELi0EEvP15transfer_data_tP16profiling_data_tm
                                        ; -- End function
	.set _Z16flag_sync_kernelILi1ELi0EEvP15transfer_data_tP16profiling_data_tm.num_vgpr, 45
	.set _Z16flag_sync_kernelILi1ELi0EEvP15transfer_data_tP16profiling_data_tm.num_agpr, 0
	.set _Z16flag_sync_kernelILi1ELi0EEvP15transfer_data_tP16profiling_data_tm.numbered_sgpr, 28
	.set _Z16flag_sync_kernelILi1ELi0EEvP15transfer_data_tP16profiling_data_tm.num_named_barrier, 0
	.set _Z16flag_sync_kernelILi1ELi0EEvP15transfer_data_tP16profiling_data_tm.private_seg_size, 0
	.set _Z16flag_sync_kernelILi1ELi0EEvP15transfer_data_tP16profiling_data_tm.uses_vcc, 1
	.set _Z16flag_sync_kernelILi1ELi0EEvP15transfer_data_tP16profiling_data_tm.uses_flat_scratch, 0
	.set _Z16flag_sync_kernelILi1ELi0EEvP15transfer_data_tP16profiling_data_tm.has_dyn_sized_stack, 0
	.set _Z16flag_sync_kernelILi1ELi0EEvP15transfer_data_tP16profiling_data_tm.has_recursion, 0
	.set _Z16flag_sync_kernelILi1ELi0EEvP15transfer_data_tP16profiling_data_tm.has_indirect_call, 0
	.section	.AMDGPU.csdata,"",@progbits
; Kernel info:
; codeLenInByte = 1520
; TotalNumSgprs: 32
; NumVgprs: 45
; ScratchSize: 0
; MemoryBound: 0
; FloatMode: 240
; IeeeMode: 1
; LDSByteSize: 0 bytes/workgroup (compile time only)
; SGPRBlocks: 3
; VGPRBlocks: 11
; NumSGPRsForWavesPerEU: 32
; NumVGPRsForWavesPerEU: 45
; Occupancy: 5
; WaveLimiterHint : 1
; COMPUTE_PGM_RSRC2:SCRATCH_EN: 0
; COMPUTE_PGM_RSRC2:USER_SGPR: 6
; COMPUTE_PGM_RSRC2:TRAP_HANDLER: 0
; COMPUTE_PGM_RSRC2:TGID_X_EN: 1
; COMPUTE_PGM_RSRC2:TGID_Y_EN: 0
; COMPUTE_PGM_RSRC2:TGID_Z_EN: 0
; COMPUTE_PGM_RSRC2:TIDIG_COMP_CNT: 0
	.section	.text._Z16flag_sync_kernelILi1ELi1EEvP15transfer_data_tP16profiling_data_tm,"axG",@progbits,_Z16flag_sync_kernelILi1ELi1EEvP15transfer_data_tP16profiling_data_tm,comdat
	.protected	_Z16flag_sync_kernelILi1ELi1EEvP15transfer_data_tP16profiling_data_tm ; -- Begin function _Z16flag_sync_kernelILi1ELi1EEvP15transfer_data_tP16profiling_data_tm
	.globl	_Z16flag_sync_kernelILi1ELi1EEvP15transfer_data_tP16profiling_data_tm
	.p2align	8
	.type	_Z16flag_sync_kernelILi1ELi1EEvP15transfer_data_tP16profiling_data_tm,@function
_Z16flag_sync_kernelILi1ELi1EEvP15transfer_data_tP16profiling_data_tm: ; @_Z16flag_sync_kernelILi1ELi1EEvP15transfer_data_tP16profiling_data_tm
; %bb.0:
	s_mov_b64 s[26:27], s[2:3]
	s_mov_b64 s[24:25], s[0:1]
	s_load_dwordx4 s[8:11], s[4:5], 0x0
	s_load_dwordx2 s[2:3], s[4:5], 0x10
	s_add_u32 s24, s24, s7
	s_addc_u32 s25, s25, 0
	v_cmp_eq_u32_e64 s[0:1], 0, v0
	s_waitcnt lgkmcnt(0)
	s_load_dword s18, s[8:9], 0x8c0
	s_and_saveexec_b64 s[4:5], s[0:1]
	s_cbranch_execz .LBB4_10
; %bb.1:
	s_load_dword s12, s[8:9], 0x8c4
	s_load_dwordx2 s[16:17], s[8:9], 0x8d0
	s_mov_b64 s[14:15], src_private_base
	s_waitcnt lgkmcnt(0)
	s_ashr_i32 s13, s12, 31
	s_lshl_b64 s[12:13], s[12:13], 3
	s_add_u32 s12, s16, s12
	s_addc_u32 s13, s17, s13
	s_cmp_eq_u32 s13, s15
	s_cselect_b64 s[14:15], -1, 0
	s_andn2_b64 vcc, exec, s[14:15]
	s_mov_b64 s[14:15], -1
	s_cbranch_vccz .LBB4_3
; %bb.2:
	v_mov_b32_e32 v1, 1
	v_mov_b32_e32 v3, s12
	;; [unrolled: 1-line block ×4, first 2 shown]
	flat_atomic_add_x2 v[3:4], v[1:2]
	s_waitcnt vmcnt(0) lgkmcnt(0)
	buffer_wbinvl1_vol
	s_mov_b64 s[14:15], 0
.LBB4_3:
	s_andn2_b64 vcc, exec, s[14:15]
	s_cbranch_vccnz .LBB4_5
; %bb.4:
	s_cmp_lg_u64 s[12:13], 0
	s_cselect_b32 s7, s12, -1
	v_mov_b32_e32 v1, s7
	buffer_load_dword v2, v1, s[24:27], 0 offen
	buffer_load_dword v3, v1, s[24:27], 0 offen offset:4
	s_waitcnt vmcnt(1)
	v_add_co_u32_e32 v2, vcc, 1, v2
	s_waitcnt vmcnt(0)
	v_addc_co_u32_e32 v3, vcc, 0, v3, vcc
	buffer_store_dword v2, v1, s[24:27], 0 offen
	buffer_store_dword v3, v1, s[24:27], 0 offen offset:4
.LBB4_5:
	v_mov_b32_e32 v1, 0
	global_load_dword v2, v1, s[8:9] offset:2248
	s_waitcnt vmcnt(0)
	v_cmp_gt_i32_e32 vcc, 1, v2
	s_cbranch_vccnz .LBB4_10
; %bb.6:
	s_mov_b32 s13, 0
	s_mov_b32 s12, s13
.LBB4_7:                                ; =>This Loop Header: Depth=1
                                        ;     Child Loop BB4_8 Depth 2
	s_lshl_b64 s[16:17], s[12:13], 3
	s_mov_b64 s[14:15], 0
	v_mov_b32_e32 v2, s17
.LBB4_8:                                ;   Parent Loop BB4_7 Depth=1
                                        ; =>  This Inner Loop Header: Depth=2
	global_load_dwordx2 v[3:4], v1, s[8:9] offset:2256
	s_waitcnt vmcnt(0)
	v_add_co_u32_e32 v3, vcc, s16, v3
	v_addc_co_u32_e32 v4, vcc, v4, v2, vcc
	flat_load_dwordx2 v[3:4], v[3:4] glc
	s_waitcnt vmcnt(0) lgkmcnt(0)
	buffer_wbinvl1_vol
	v_cmp_le_u64_e32 vcc, s[2:3], v[3:4]
	s_or_b64 s[14:15], vcc, s[14:15]
	s_andn2_b64 exec, exec, s[14:15]
	s_cbranch_execnz .LBB4_8
; %bb.9:                                ;   in Loop: Header=BB4_7 Depth=1
	s_or_b64 exec, exec, s[14:15]
	global_load_dword v2, v1, s[8:9] offset:2248
	s_add_i32 s12, s12, 1
	s_waitcnt vmcnt(0)
	v_cmp_lt_i32_e32 vcc, s12, v2
	s_cbranch_vccnz .LBB4_7
.LBB4_10:
	s_or_b64 exec, exec, s[4:5]
	s_waitcnt lgkmcnt(0)
	s_barrier
                                        ; implicit-def: $sgpr12_sgpr13
	s_and_saveexec_b64 s[2:3], s[0:1]
; %bb.11:
	s_memrealtime s[12:13]
; %bb.12:
	s_or_b64 exec, exec, s[2:3]
	s_ashr_i32 s7, s6, 31
	s_cmp_lt_i32 s18, 1
	s_cbranch_scc1 .LBB4_35
; %bb.13:
	s_lshl_b64 s[2:3], s[6:7], 3
	s_add_u32 s2, s8, s2
	s_addc_u32 s3, s9, s3
	v_mov_b32_e32 v5, 0
	global_load_dwordx2 v[1:2], v5, s[2:3] offset:448
	global_load_dwordx2 v[3:4], v5, s[2:3] offset:896
	v_lshrrev_b32_e32 v6, 6, v0
	v_and_b32_e32 v7, 63, v0
	s_mov_b32 s2, 0
	s_waitcnt vmcnt(0)
	v_or_b32_e32 v5, v3, v1
	v_and_b32_e32 v5, 3, v5
	v_cmp_eq_u32_e32 vcc, 0, v5
	v_lshl_or_b32 v5, v6, 9, v7
	s_cbranch_vccnz .LBB4_24
; %bb.14:
	v_lshl_or_b32 v6, v6, 9, v7
	s_mov_b64 s[8:9], -1
	s_cbranch_execnz .LBB4_25
.LBB4_15:
	s_lshr_b32 s2, s18, 2
	s_and_b32 s19, s2, 0x1ffffe00
	v_cmp_gt_u32_e32 vcc, s19, v5
	s_and_saveexec_b64 s[14:15], vcc
	s_cbranch_execz .LBB4_18
; %bb.16:
	v_lshlrev_b32_e32 v8, 4, v5
	v_add_co_u32_e32 v6, vcc, v3, v8
	v_addc_co_u32_e32 v7, vcc, 0, v4, vcc
	v_add_co_u32_e32 v8, vcc, v1, v8
	v_addc_co_u32_e32 v9, vcc, 0, v2, vcc
	s_mov_b64 s[16:17], 0
	s_movk_i32 s20, 0x1000
	v_mov_b32_e32 v10, v5
.LBB4_17:                               ; =>This Inner Loop Header: Depth=1
	v_add_co_u32_e32 v39, vcc, 0x1000, v8
	s_mov_b64 s[2:3], vcc
	flat_load_dwordx4 v[11:14], v[8:9] glc slc
	flat_load_dwordx4 v[15:18], v[8:9] offset:1024 glc slc
	flat_load_dwordx4 v[19:22], v[8:9] offset:2048 glc slc
	;; [unrolled: 1-line block ×3, first 2 shown]
	v_mov_b32_e32 v27, v39
	v_addc_co_u32_e64 v28, s[2:3], 0, v9, s[2:3]
	v_addc_co_u32_e32 v40, vcc, 0, v9, vcc
	flat_load_dwordx4 v[27:30], v[27:28] glc slc
	s_nop 0
	flat_load_dwordx4 v[31:34], v[39:40] offset:1024 glc slc
	flat_load_dwordx4 v[35:38], v[39:40] offset:2048 glc slc
	s_nop 0
	flat_load_dwordx4 v[39:42], v[39:40] offset:3072 glc slc
	v_add_co_u32_e32 v43, vcc, s20, v6
	s_mov_b64 s[2:3], vcc
	v_add_co_u32_e32 v8, vcc, 0x8000, v8
	v_add_u32_e32 v10, 0x800, v10
	v_addc_co_u32_e32 v9, vcc, 0, v9, vcc
	v_cmp_le_u32_e64 s[4:5], s19, v10
	s_or_b64 s[16:17], s[4:5], s[16:17]
	v_addc_co_u32_e64 v44, s[2:3], 0, v7, s[2:3]
	s_waitcnt vmcnt(0) lgkmcnt(0)
	flat_store_dwordx4 v[6:7], v[11:14] glc slc
	flat_store_dwordx4 v[6:7], v[15:18] offset:1024 glc slc
	flat_store_dwordx4 v[6:7], v[19:22] offset:2048 glc slc
	;; [unrolled: 1-line block ×3, first 2 shown]
	v_add_co_u32_e32 v6, vcc, 0x8000, v6
	v_addc_co_u32_e32 v7, vcc, 0, v7, vcc
	flat_store_dwordx4 v[43:44], v[27:30] glc slc
	flat_store_dwordx4 v[43:44], v[31:34] offset:1024 glc slc
	flat_store_dwordx4 v[43:44], v[35:38] offset:2048 glc slc
	;; [unrolled: 1-line block ×3, first 2 shown]
	s_andn2_b64 exec, exec, s[16:17]
	s_cbranch_execnz .LBB4_17
.LBB4_18:
	s_or_b64 exec, exec, s[14:15]
	s_lshl_b32 s2, s19, 2
	s_cmp_eq_u32 s18, s2
	s_cbranch_scc1 .LBB4_26
; %bb.19:
	s_sub_i32 s16, s18, s2
	s_ashr_i32 s17, s16, 2
	v_cmp_gt_i32_e32 vcc, s17, v0
	s_and_saveexec_b64 s[4:5], vcc
	s_cbranch_execz .LBB4_22
; %bb.20:
	s_mov_b32 s3, 0
	s_lshl_b64 s[14:15], s[2:3], 2
	v_mov_b32_e32 v8, s15
	v_add_co_u32_e32 v6, vcc, s14, v3
	v_addc_co_u32_e32 v7, vcc, v4, v8, vcc
	v_lshlrev_b32_e32 v9, 4, v0
	v_add_co_u32_e32 v6, vcc, v6, v9
	v_addc_co_u32_e32 v7, vcc, 0, v7, vcc
	v_add_co_u32_e32 v10, vcc, s14, v1
	v_addc_co_u32_e32 v11, vcc, v2, v8, vcc
	;; [unrolled: 2-line block ×3, first 2 shown]
	s_mov_b64 s[14:15], 0
	v_mov_b32_e32 v10, v0
.LBB4_21:                               ; =>This Inner Loop Header: Depth=1
	flat_load_dwordx4 v[11:14], v[8:9] glc slc
	v_add_co_u32_e32 v8, vcc, 0x1000, v8
	v_add_u32_e32 v10, 0x100, v10
	v_addc_co_u32_e32 v9, vcc, 0, v9, vcc
	v_cmp_le_i32_e32 vcc, s17, v10
	s_or_b64 s[14:15], vcc, s[14:15]
	s_waitcnt vmcnt(0) lgkmcnt(0)
	flat_store_dwordx4 v[6:7], v[11:14]
	v_add_co_u32_e32 v6, vcc, 0x1000, v6
	v_addc_co_u32_e32 v7, vcc, 0, v7, vcc
	s_andn2_b64 exec, exec, s[14:15]
	s_cbranch_execnz .LBB4_21
.LBB4_22:
	s_or_b64 exec, exec, s[4:5]
	s_and_b32 s14, s18, 3
	s_cmp_eq_u32 s14, 0
	s_cbranch_scc1 .LBB4_27
; %bb.23:
	s_and_b32 s3, s16, -4
	s_add_i32 s2, s3, s2
	s_cbranch_execnz .LBB4_28
	s_branch .LBB4_35
.LBB4_24:
	s_mov_b64 s[8:9], 0
                                        ; implicit-def: $vgpr6
	s_branch .LBB4_15
.LBB4_25:
	s_mov_b32 s14, s18
	v_mov_b32_e32 v5, v6
	s_and_b64 vcc, exec, s[8:9]
	s_cbranch_vccnz .LBB4_28
	s_branch .LBB4_35
.LBB4_26:
                                        ; implicit-def: $sgpr14
.LBB4_27:
                                        ; implicit-def: $sgpr2
	s_and_b64 vcc, exec, s[8:9]
	s_cbranch_vccz .LBB4_35
.LBB4_28:
	s_and_b32 s15, s14, 0x7ffffe00
	v_cmp_gt_u32_e32 vcc, s15, v5
	s_and_saveexec_b64 s[4:5], vcc
	s_cbranch_execz .LBB4_31
; %bb.29:
	s_ashr_i32 s3, s2, 31
	s_lshl_b64 s[8:9], s[2:3], 2
	v_mov_b32_e32 v6, 0
	v_mov_b32_e32 v10, s9
	v_add_co_u32_e32 v7, vcc, s8, v3
	v_lshlrev_b64 v[8:9], 2, v[5:6]
	v_addc_co_u32_e32 v11, vcc, v4, v10, vcc
	v_add_co_u32_e32 v6, vcc, v7, v8
	v_addc_co_u32_e32 v7, vcc, v11, v9, vcc
	v_add_co_u32_e32 v11, vcc, s8, v1
	;; [unrolled: 2-line block ×3, first 2 shown]
	v_addc_co_u32_e32 v9, vcc, v10, v9, vcc
	s_mov_b64 s[8:9], 0
.LBB4_30:                               ; =>This Inner Loop Header: Depth=1
	flat_load_dword v10, v[8:9] glc slc
	flat_load_dword v11, v[8:9] offset:256 glc slc
	flat_load_dword v12, v[8:9] offset:512 glc slc
	;; [unrolled: 1-line block ×7, first 2 shown]
	v_add_co_u32_e32 v8, vcc, 0x2000, v8
	v_add_u32_e32 v5, 0x800, v5
	v_addc_co_u32_e32 v9, vcc, 0, v9, vcc
	v_cmp_le_u32_e32 vcc, s15, v5
	s_or_b64 s[8:9], vcc, s[8:9]
	s_waitcnt vmcnt(0) lgkmcnt(0)
	flat_store_dword v[6:7], v10 glc slc
	flat_store_dword v[6:7], v11 offset:256 glc slc
	flat_store_dword v[6:7], v12 offset:512 glc slc
	;; [unrolled: 1-line block ×7, first 2 shown]
	v_add_co_u32_e32 v6, vcc, 0x2000, v6
	v_addc_co_u32_e32 v7, vcc, 0, v7, vcc
	s_andn2_b64 exec, exec, s[8:9]
	s_cbranch_execnz .LBB4_30
.LBB4_31:
	s_or_b64 exec, exec, s[4:5]
	s_and_b32 s8, s14, 0x1ff
	s_cmp_lg_u32 s8, 0
	s_cselect_b64 s[4:5], -1, 0
	v_cmp_gt_u32_e32 vcc, s8, v0
	s_and_b64 s[16:17], s[4:5], vcc
	s_and_saveexec_b64 s[4:5], s[16:17]
	s_cbranch_execz .LBB4_34
; %bb.32:
	s_add_i32 s2, s15, s2
	s_ashr_i32 s3, s2, 31
	s_lshl_b64 s[2:3], s[2:3], 2
	v_mov_b32_e32 v5, s3
	v_add_co_u32_e32 v3, vcc, s2, v3
	v_addc_co_u32_e32 v4, vcc, v4, v5, vcc
	v_lshlrev_b32_e32 v6, 2, v0
	v_add_co_u32_e32 v3, vcc, v3, v6
	v_addc_co_u32_e32 v4, vcc, 0, v4, vcc
	v_add_co_u32_e32 v1, vcc, s2, v1
	v_addc_co_u32_e32 v2, vcc, v2, v5, vcc
	;; [unrolled: 2-line block ×3, first 2 shown]
	s_mov_b64 s[2:3], 0
.LBB4_33:                               ; =>This Inner Loop Header: Depth=1
	flat_load_dword v5, v[1:2] glc slc
	v_add_co_u32_e32 v1, vcc, 0x400, v1
	v_add_u32_e32 v0, 0x100, v0
	v_addc_co_u32_e32 v2, vcc, 0, v2, vcc
	v_cmp_le_u32_e32 vcc, s8, v0
	s_or_b64 s[2:3], vcc, s[2:3]
	s_waitcnt vmcnt(0) lgkmcnt(0)
	flat_store_dword v[3:4], v5 glc slc
	v_add_co_u32_e32 v3, vcc, 0x400, v3
	v_addc_co_u32_e32 v4, vcc, 0, v4, vcc
	s_andn2_b64 exec, exec, s[2:3]
	s_cbranch_execnz .LBB4_33
.LBB4_34:
	s_or_b64 exec, exec, s[4:5]
.LBB4_35:
	s_waitcnt vmcnt(0) lgkmcnt(0)
	s_barrier
	s_and_saveexec_b64 s[2:3], s[0:1]
	s_cbranch_execz .LBB4_40
; %bb.36:
	s_lshl_b64 s[0:1], s[6:7], 3
	s_memrealtime s[6:7]
	s_mov_b64 s[4:5], exec
	v_mbcnt_lo_u32_b32 v0, s4, 0
	s_add_u32 s0, s10, s0
	v_mbcnt_hi_u32_b32 v0, s5, v0
	s_addc_u32 s1, s11, s1
	v_cmp_eq_u32_e32 vcc, 0, v0
	s_and_saveexec_b64 s[2:3], vcc
	s_cbranch_execz .LBB4_38
; %bb.37:
	s_waitcnt lgkmcnt(0)
	s_sub_u32 s6, s6, s12
	s_subb_u32 s7, s7, s13
	s_bcnt1_i32_b64 s4, s[4:5]
	s_mul_i32 s7, s7, s4
	s_mul_hi_u32 s5, s6, s4
	s_add_i32 s5, s5, s7
	s_mul_i32 s6, s6, s4
	v_mov_b32_e32 v0, s6
	v_mov_b32_e32 v1, s5
	;; [unrolled: 1-line block ×3, first 2 shown]
	global_atomic_add_x2 v2, v[0:1], s[0:1]
	s_waitcnt vmcnt(0)
	buffer_wbinvl1_vol
.LBB4_38:
	s_or_b64 exec, exec, s[2:3]
	s_mov_b64 s[2:3], exec
	v_mbcnt_lo_u32_b32 v0, s2, 0
	v_mbcnt_hi_u32_b32 v0, s3, v0
	v_cmp_eq_u32_e32 vcc, 0, v0
	s_and_b64 s[4:5], exec, vcc
	s_mov_b64 exec, s[4:5]
	s_cbranch_execz .LBB4_40
; %bb.39:
	s_bcnt1_i32_b64 s2, s[2:3]
	s_mul_hi_i32 s3, s18, s2
	s_mul_i32 s2, s18, s2
	s_lshl_b64 s[2:3], s[2:3], 2
	v_mov_b32_e32 v0, s2
	v_mov_b32_e32 v2, 0
	;; [unrolled: 1-line block ×3, first 2 shown]
	s_waitcnt lgkmcnt(0)
	global_atomic_add_x2 v2, v[0:1], s[0:1] offset:448
	s_waitcnt vmcnt(0)
	buffer_wbinvl1_vol
.LBB4_40:
	s_endpgm
	.section	.rodata,"a",@progbits
	.p2align	6, 0x0
	.amdhsa_kernel _Z16flag_sync_kernelILi1ELi1EEvP15transfer_data_tP16profiling_data_tm
		.amdhsa_group_segment_fixed_size 0
		.amdhsa_private_segment_fixed_size 0
		.amdhsa_kernarg_size 24
		.amdhsa_user_sgpr_count 6
		.amdhsa_user_sgpr_private_segment_buffer 1
		.amdhsa_user_sgpr_dispatch_ptr 0
		.amdhsa_user_sgpr_queue_ptr 0
		.amdhsa_user_sgpr_kernarg_segment_ptr 1
		.amdhsa_user_sgpr_dispatch_id 0
		.amdhsa_user_sgpr_flat_scratch_init 0
		.amdhsa_user_sgpr_private_segment_size 0
		.amdhsa_uses_dynamic_stack 0
		.amdhsa_system_sgpr_private_segment_wavefront_offset 0
		.amdhsa_system_sgpr_workgroup_id_x 1
		.amdhsa_system_sgpr_workgroup_id_y 0
		.amdhsa_system_sgpr_workgroup_id_z 0
		.amdhsa_system_sgpr_workgroup_info 0
		.amdhsa_system_vgpr_workitem_id 0
		.amdhsa_next_free_vgpr 45
		.amdhsa_next_free_sgpr 28
		.amdhsa_reserve_vcc 1
		.amdhsa_reserve_flat_scratch 0
		.amdhsa_float_round_mode_32 0
		.amdhsa_float_round_mode_16_64 0
		.amdhsa_float_denorm_mode_32 3
		.amdhsa_float_denorm_mode_16_64 3
		.amdhsa_dx10_clamp 1
		.amdhsa_ieee_mode 1
		.amdhsa_fp16_overflow 0
		.amdhsa_exception_fp_ieee_invalid_op 0
		.amdhsa_exception_fp_denorm_src 0
		.amdhsa_exception_fp_ieee_div_zero 0
		.amdhsa_exception_fp_ieee_overflow 0
		.amdhsa_exception_fp_ieee_underflow 0
		.amdhsa_exception_fp_ieee_inexact 0
		.amdhsa_exception_int_div_zero 0
	.end_amdhsa_kernel
	.section	.text._Z16flag_sync_kernelILi1ELi1EEvP15transfer_data_tP16profiling_data_tm,"axG",@progbits,_Z16flag_sync_kernelILi1ELi1EEvP15transfer_data_tP16profiling_data_tm,comdat
.Lfunc_end4:
	.size	_Z16flag_sync_kernelILi1ELi1EEvP15transfer_data_tP16profiling_data_tm, .Lfunc_end4-_Z16flag_sync_kernelILi1ELi1EEvP15transfer_data_tP16profiling_data_tm
                                        ; -- End function
	.set _Z16flag_sync_kernelILi1ELi1EEvP15transfer_data_tP16profiling_data_tm.num_vgpr, 45
	.set _Z16flag_sync_kernelILi1ELi1EEvP15transfer_data_tP16profiling_data_tm.num_agpr, 0
	.set _Z16flag_sync_kernelILi1ELi1EEvP15transfer_data_tP16profiling_data_tm.numbered_sgpr, 28
	.set _Z16flag_sync_kernelILi1ELi1EEvP15transfer_data_tP16profiling_data_tm.num_named_barrier, 0
	.set _Z16flag_sync_kernelILi1ELi1EEvP15transfer_data_tP16profiling_data_tm.private_seg_size, 0
	.set _Z16flag_sync_kernelILi1ELi1EEvP15transfer_data_tP16profiling_data_tm.uses_vcc, 1
	.set _Z16flag_sync_kernelILi1ELi1EEvP15transfer_data_tP16profiling_data_tm.uses_flat_scratch, 0
	.set _Z16flag_sync_kernelILi1ELi1EEvP15transfer_data_tP16profiling_data_tm.has_dyn_sized_stack, 0
	.set _Z16flag_sync_kernelILi1ELi1EEvP15transfer_data_tP16profiling_data_tm.has_recursion, 0
	.set _Z16flag_sync_kernelILi1ELi1EEvP15transfer_data_tP16profiling_data_tm.has_indirect_call, 0
	.section	.AMDGPU.csdata,"",@progbits
; Kernel info:
; codeLenInByte = 1656
; TotalNumSgprs: 32
; NumVgprs: 45
; ScratchSize: 0
; MemoryBound: 0
; FloatMode: 240
; IeeeMode: 1
; LDSByteSize: 0 bytes/workgroup (compile time only)
; SGPRBlocks: 3
; VGPRBlocks: 11
; NumSGPRsForWavesPerEU: 32
; NumVGPRsForWavesPerEU: 45
; Occupancy: 5
; WaveLimiterHint : 1
; COMPUTE_PGM_RSRC2:SCRATCH_EN: 0
; COMPUTE_PGM_RSRC2:USER_SGPR: 6
; COMPUTE_PGM_RSRC2:TRAP_HANDLER: 0
; COMPUTE_PGM_RSRC2:TGID_X_EN: 1
; COMPUTE_PGM_RSRC2:TGID_Y_EN: 0
; COMPUTE_PGM_RSRC2:TGID_Z_EN: 0
; COMPUTE_PGM_RSRC2:TIDIG_COMP_CNT: 0
	.section	.text._Z16flag_sync_kernelILi2ELi0EEvP15transfer_data_tP16profiling_data_tm,"axG",@progbits,_Z16flag_sync_kernelILi2ELi0EEvP15transfer_data_tP16profiling_data_tm,comdat
	.protected	_Z16flag_sync_kernelILi2ELi0EEvP15transfer_data_tP16profiling_data_tm ; -- Begin function _Z16flag_sync_kernelILi2ELi0EEvP15transfer_data_tP16profiling_data_tm
	.globl	_Z16flag_sync_kernelILi2ELi0EEvP15transfer_data_tP16profiling_data_tm
	.p2align	8
	.type	_Z16flag_sync_kernelILi2ELi0EEvP15transfer_data_tP16profiling_data_tm,@function
_Z16flag_sync_kernelILi2ELi0EEvP15transfer_data_tP16profiling_data_tm: ; @_Z16flag_sync_kernelILi2ELi0EEvP15transfer_data_tP16profiling_data_tm
; %bb.0:
	s_load_dwordx4 s[8:11], s[4:5], 0x0
	s_mov_b64 s[26:27], s[2:3]
	s_mov_b64 s[24:25], s[0:1]
	s_add_u32 s24, s24, s7
	s_addc_u32 s25, s25, 0
	s_waitcnt lgkmcnt(0)
	s_load_dword s18, s[8:9], 0x8c0
	v_cmp_eq_u32_e64 s[0:1], 0, v0
	s_and_saveexec_b64 s[2:3], s[0:1]
	s_cbranch_execz .LBB5_5
; %bb.1:
	s_load_dword s4, s[8:9], 0x8c4
	s_load_dwordx2 s[14:15], s[8:9], 0x8d0
	s_mov_b64 s[12:13], src_private_base
	s_waitcnt lgkmcnt(0)
	s_ashr_i32 s5, s4, 31
	s_lshl_b64 s[4:5], s[4:5], 3
	s_add_u32 s4, s14, s4
	s_addc_u32 s5, s15, s5
	s_cmp_eq_u32 s5, s13
	s_cselect_b64 s[12:13], -1, 0
	s_andn2_b64 vcc, exec, s[12:13]
	s_mov_b64 s[12:13], -1
	s_cbranch_vccz .LBB5_3
; %bb.2:
	v_mov_b32_e32 v1, 1
	v_mov_b32_e32 v3, s4
	;; [unrolled: 1-line block ×4, first 2 shown]
	flat_atomic_add_x2 v[3:4], v[1:2]
	s_waitcnt vmcnt(0) lgkmcnt(0)
	buffer_wbinvl1_vol
	s_mov_b64 s[12:13], 0
.LBB5_3:
	s_andn2_b64 vcc, exec, s[12:13]
	s_cbranch_vccnz .LBB5_5
; %bb.4:
	s_cmp_lg_u64 s[4:5], 0
	s_cselect_b32 s4, s4, -1
	v_mov_b32_e32 v1, s4
	buffer_load_dword v2, v1, s[24:27], 0 offen
	buffer_load_dword v3, v1, s[24:27], 0 offen offset:4
	s_waitcnt vmcnt(1)
	v_add_co_u32_e32 v2, vcc, 1, v2
	s_waitcnt vmcnt(0)
	v_addc_co_u32_e32 v3, vcc, 0, v3, vcc
	buffer_store_dword v2, v1, s[24:27], 0 offen
	buffer_store_dword v3, v1, s[24:27], 0 offen offset:4
.LBB5_5:
	s_or_b64 exec, exec, s[2:3]
	s_waitcnt vmcnt(0) lgkmcnt(0)
	s_barrier
                                        ; implicit-def: $sgpr12_sgpr13
	s_and_saveexec_b64 s[2:3], s[0:1]
; %bb.6:
	s_memrealtime s[12:13]
; %bb.7:
	s_or_b64 exec, exec, s[2:3]
	s_ashr_i32 s7, s6, 31
	s_cmp_lt_i32 s18, 1
	s_cbranch_scc1 .LBB5_29
; %bb.8:
	s_lshl_b64 s[2:3], s[6:7], 3
	s_add_u32 s2, s8, s2
	s_addc_u32 s3, s9, s3
	v_mov_b32_e32 v7, 0
	global_load_dwordx2 v[5:6], v7, s[2:3] offset:448
	global_load_dwordx2 v[1:2], v7, s[2:3] offset:896
	global_load_dwordx2 v[3:4], v7, s[2:3]
	v_lshrrev_b32_e32 v8, 6, v0
	v_and_b32_e32 v9, 63, v0
	s_mov_b32 s2, 0
	s_waitcnt vmcnt(0)
	v_or_b32_e32 v7, v3, v5
	v_or_b32_e32 v7, v7, v1
	v_and_b32_e32 v7, 3, v7
	v_cmp_eq_u32_e32 vcc, 0, v7
	v_lshl_or_b32 v7, v8, 8, v9
	s_cbranch_vccnz .LBB5_19
; %bb.9:
	v_lshl_or_b32 v8, v8, 8, v9
	s_mov_b64 s[8:9], -1
	s_cbranch_execnz .LBB5_20
.LBB5_10:
	s_lshr_b32 s2, s18, 2
	s_and_b32 s19, s2, 0x1fffff00
	v_cmp_gt_u32_e32 vcc, s19, v7
	s_and_saveexec_b64 s[14:15], vcc
	s_cbranch_execz .LBB5_13
; %bb.11:
	v_lshlrev_b32_e32 v12, 4, v7
	v_add_co_u32_e32 v8, vcc, v5, v12
	v_addc_co_u32_e32 v9, vcc, 0, v6, vcc
	v_add_co_u32_e32 v10, vcc, v1, v12
	v_addc_co_u32_e32 v11, vcc, 0, v2, vcc
	;; [unrolled: 2-line block ×3, first 2 shown]
	s_mov_b64 s[16:17], 0
	s_movk_i32 s20, 0x4000
	v_mov_b32_e32 v14, v7
.LBB5_12:                               ; =>This Inner Loop Header: Depth=1
	flat_load_dwordx4 v[15:18], v[8:9] glc slc
	flat_load_dwordx4 v[19:22], v[8:9] offset:1024 glc slc
	flat_load_dwordx4 v[23:26], v[8:9] offset:2048 glc slc
	;; [unrolled: 1-line block ×3, first 2 shown]
	v_add_u32_e32 v14, 0x400, v14
	v_cmp_le_u32_e32 vcc, s19, v14
	s_or_b64 s[16:17], vcc, s[16:17]
	s_waitcnt vmcnt(0) lgkmcnt(0)
	flat_store_dwordx4 v[12:13], v[15:18] glc slc
	flat_store_dwordx4 v[12:13], v[19:22] offset:1024 glc slc
	flat_store_dwordx4 v[12:13], v[23:26] offset:2048 glc slc
	;; [unrolled: 1-line block ×3, first 2 shown]
	flat_store_dwordx4 v[10:11], v[15:18] glc slc
	flat_store_dwordx4 v[10:11], v[19:22] offset:1024 glc slc
	flat_store_dwordx4 v[10:11], v[23:26] offset:2048 glc slc
	flat_store_dwordx4 v[10:11], v[27:30] offset:3072 glc slc
	v_add_co_u32_e32 v12, vcc, s20, v12
	s_mov_b64 s[2:3], vcc
	v_add_co_u32_e32 v10, vcc, 0x4000, v10
	s_mov_b64 s[4:5], vcc
	v_addc_co_u32_e64 v13, vcc, 0, v13, s[2:3]
	v_add_co_u32_e32 v8, vcc, 0x4000, v8
	v_addc_co_u32_e64 v11, s[2:3], 0, v11, s[4:5]
	v_addc_co_u32_e32 v9, vcc, 0, v9, vcc
	s_andn2_b64 exec, exec, s[16:17]
	s_cbranch_execnz .LBB5_12
.LBB5_13:
	s_or_b64 exec, exec, s[14:15]
	s_lshl_b32 s2, s19, 2
	s_cmp_eq_u32 s18, s2
	s_cbranch_scc1 .LBB5_21
; %bb.14:
	s_sub_i32 s16, s18, s2
	s_ashr_i32 s17, s16, 2
	v_cmp_gt_i32_e32 vcc, s17, v0
	s_and_saveexec_b64 s[4:5], vcc
	s_cbranch_execz .LBB5_17
; %bb.15:
	s_mov_b32 s3, 0
	s_lshl_b64 s[14:15], s[2:3], 2
	v_mov_b32_e32 v12, s15
	v_add_co_u32_e32 v8, vcc, s14, v5
	v_addc_co_u32_e32 v9, vcc, v6, v12, vcc
	v_lshlrev_b32_e32 v13, 4, v0
	v_add_co_u32_e32 v8, vcc, v8, v13
	v_addc_co_u32_e32 v9, vcc, 0, v9, vcc
	v_add_co_u32_e32 v10, vcc, s14, v3
	v_addc_co_u32_e32 v11, vcc, v4, v12, vcc
	;; [unrolled: 2-line block ×5, first 2 shown]
	s_mov_b64 s[14:15], 0
	v_mov_b32_e32 v14, v0
.LBB5_16:                               ; =>This Inner Loop Header: Depth=1
	flat_load_dwordx4 v[15:18], v[8:9] glc slc
	v_add_u32_e32 v14, 0x100, v14
	v_cmp_le_i32_e32 vcc, s17, v14
	s_or_b64 s[14:15], vcc, s[14:15]
	s_waitcnt vmcnt(0) lgkmcnt(0)
	flat_store_dwordx4 v[10:11], v[15:18]
	flat_store_dwordx4 v[12:13], v[15:18]
	v_add_co_u32_e32 v10, vcc, 0x1000, v10
	v_addc_co_u32_e32 v11, vcc, 0, v11, vcc
	v_add_co_u32_e32 v12, vcc, 0x1000, v12
	v_addc_co_u32_e32 v13, vcc, 0, v13, vcc
	;; [unrolled: 2-line block ×3, first 2 shown]
	s_andn2_b64 exec, exec, s[14:15]
	s_cbranch_execnz .LBB5_16
.LBB5_17:
	s_or_b64 exec, exec, s[4:5]
	s_and_b32 s14, s18, 3
	s_cmp_eq_u32 s14, 0
	s_cbranch_scc1 .LBB5_22
; %bb.18:
	s_and_b32 s3, s16, -4
	s_add_i32 s2, s3, s2
	s_cbranch_execnz .LBB5_23
	s_branch .LBB5_29
.LBB5_19:
	s_mov_b64 s[8:9], 0
                                        ; implicit-def: $vgpr8
	s_branch .LBB5_10
.LBB5_20:
	s_mov_b32 s14, s18
	v_mov_b32_e32 v7, v8
	s_and_b64 vcc, exec, s[8:9]
	s_cbranch_vccnz .LBB5_23
	s_branch .LBB5_29
.LBB5_21:
                                        ; implicit-def: $sgpr14
.LBB5_22:
                                        ; implicit-def: $sgpr2
	s_and_b64 vcc, exec, s[8:9]
	s_cbranch_vccz .LBB5_29
.LBB5_23:
	s_and_b32 s15, s14, 0x7fffff00
	v_cmp_gt_u32_e32 vcc, s15, v7
	s_and_saveexec_b64 s[4:5], vcc
	s_cbranch_execz .LBB5_26
; %bb.24:
	s_ashr_i32 s3, s2, 31
	s_lshl_b64 s[8:9], s[2:3], 2
	v_mov_b32_e32 v8, 0
	v_mov_b32_e32 v14, s9
	v_add_co_u32_e32 v9, vcc, s8, v5
	v_lshlrev_b64 v[12:13], 2, v[7:8]
	v_addc_co_u32_e32 v10, vcc, v6, v14, vcc
	v_add_co_u32_e32 v8, vcc, v9, v12
	v_addc_co_u32_e32 v9, vcc, v10, v13, vcc
	v_add_co_u32_e32 v10, vcc, s8, v3
	;; [unrolled: 2-line block ×5, first 2 shown]
	v_addc_co_u32_e32 v13, vcc, v14, v13, vcc
	s_mov_b64 s[8:9], 0
	s_movk_i32 s3, 0x1000
.LBB5_25:                               ; =>This Inner Loop Header: Depth=1
	flat_load_dword v14, v[8:9] glc slc
	flat_load_dword v15, v[8:9] offset:256 glc slc
	flat_load_dword v16, v[8:9] offset:512 glc slc
	;; [unrolled: 1-line block ×3, first 2 shown]
	v_add_u32_e32 v7, 0x400, v7
	v_cmp_le_u32_e32 vcc, s15, v7
	s_or_b64 s[8:9], vcc, s[8:9]
	s_waitcnt vmcnt(0) lgkmcnt(0)
	flat_store_dword v[10:11], v14 glc slc
	flat_store_dword v[10:11], v15 offset:256 glc slc
	flat_store_dword v[10:11], v16 offset:512 glc slc
	;; [unrolled: 1-line block ×3, first 2 shown]
	flat_store_dword v[12:13], v14 glc slc
	flat_store_dword v[12:13], v15 offset:256 glc slc
	flat_store_dword v[12:13], v16 offset:512 glc slc
	;; [unrolled: 1-line block ×3, first 2 shown]
	v_add_co_u32_e32 v10, vcc, s3, v10
	v_addc_co_u32_e32 v11, vcc, 0, v11, vcc
	v_add_co_u32_e32 v12, vcc, 0x1000, v12
	v_addc_co_u32_e32 v13, vcc, 0, v13, vcc
	;; [unrolled: 2-line block ×3, first 2 shown]
	s_andn2_b64 exec, exec, s[8:9]
	s_cbranch_execnz .LBB5_25
.LBB5_26:
	s_or_b64 exec, exec, s[4:5]
	s_and_b32 s3, s14, 0xff
	s_cmp_lg_u32 s3, 0
	s_cselect_b64 s[4:5], -1, 0
	v_cmp_gt_u32_e32 vcc, s3, v0
	s_and_b64 s[8:9], s[4:5], vcc
	s_and_saveexec_b64 s[4:5], s[8:9]
	s_cbranch_execz .LBB5_28
; %bb.27:
	s_add_i32 s2, s15, s2
	s_ashr_i32 s3, s2, 31
	s_lshl_b64 s[2:3], s[2:3], 2
	v_mov_b32_e32 v7, s3
	v_add_co_u32_e32 v5, vcc, s2, v5
	v_addc_co_u32_e32 v6, vcc, v6, v7, vcc
	v_lshlrev_b32_e32 v8, 2, v0
	v_add_co_u32_e32 v5, vcc, v5, v8
	v_addc_co_u32_e32 v6, vcc, 0, v6, vcc
	flat_load_dword v5, v[5:6] glc slc
	v_add_co_u32_e32 v0, vcc, s2, v3
	v_addc_co_u32_e32 v3, vcc, v4, v7, vcc
	v_add_co_u32_e32 v4, vcc, s2, v1
	v_addc_co_u32_e32 v6, vcc, v2, v7, vcc
	;; [unrolled: 2-line block ×4, first 2 shown]
	s_waitcnt vmcnt(0) lgkmcnt(0)
	flat_store_dword v[0:1], v5 glc slc
	flat_store_dword v[2:3], v5 glc slc
.LBB5_28:
	s_or_b64 exec, exec, s[4:5]
.LBB5_29:
	s_waitcnt vmcnt(0) lgkmcnt(0)
	s_barrier
	s_and_saveexec_b64 s[2:3], s[0:1]
	s_cbranch_execz .LBB5_34
; %bb.30:
	s_lshl_b64 s[0:1], s[6:7], 3
	s_memrealtime s[6:7]
	s_mov_b64 s[4:5], exec
	v_mbcnt_lo_u32_b32 v0, s4, 0
	s_add_u32 s0, s10, s0
	v_mbcnt_hi_u32_b32 v0, s5, v0
	s_addc_u32 s1, s11, s1
	v_cmp_eq_u32_e32 vcc, 0, v0
	s_and_saveexec_b64 s[2:3], vcc
	s_cbranch_execz .LBB5_32
; %bb.31:
	s_waitcnt lgkmcnt(0)
	s_sub_u32 s6, s6, s12
	s_subb_u32 s7, s7, s13
	s_bcnt1_i32_b64 s4, s[4:5]
	s_mul_i32 s7, s7, s4
	s_mul_hi_u32 s5, s6, s4
	s_add_i32 s5, s5, s7
	s_mul_i32 s6, s6, s4
	v_mov_b32_e32 v0, s6
	v_mov_b32_e32 v1, s5
	;; [unrolled: 1-line block ×3, first 2 shown]
	global_atomic_add_x2 v2, v[0:1], s[0:1]
	s_waitcnt vmcnt(0)
	buffer_wbinvl1_vol
.LBB5_32:
	s_or_b64 exec, exec, s[2:3]
	s_mov_b64 s[2:3], exec
	v_mbcnt_lo_u32_b32 v0, s2, 0
	v_mbcnt_hi_u32_b32 v0, s3, v0
	v_cmp_eq_u32_e32 vcc, 0, v0
	s_and_b64 s[4:5], exec, vcc
	s_mov_b64 exec, s[4:5]
	s_cbranch_execz .LBB5_34
; %bb.33:
	s_bcnt1_i32_b64 s2, s[2:3]
	s_mul_hi_i32 s3, s18, s2
	s_mul_i32 s2, s18, s2
	s_lshl_b64 s[2:3], s[2:3], 2
	v_mov_b32_e32 v0, s2
	v_mov_b32_e32 v2, 0
	;; [unrolled: 1-line block ×3, first 2 shown]
	s_waitcnt lgkmcnt(0)
	global_atomic_add_x2 v2, v[0:1], s[0:1] offset:448
	s_waitcnt vmcnt(0)
	buffer_wbinvl1_vol
.LBB5_34:
	s_endpgm
	.section	.rodata,"a",@progbits
	.p2align	6, 0x0
	.amdhsa_kernel _Z16flag_sync_kernelILi2ELi0EEvP15transfer_data_tP16profiling_data_tm
		.amdhsa_group_segment_fixed_size 0
		.amdhsa_private_segment_fixed_size 0
		.amdhsa_kernarg_size 24
		.amdhsa_user_sgpr_count 6
		.amdhsa_user_sgpr_private_segment_buffer 1
		.amdhsa_user_sgpr_dispatch_ptr 0
		.amdhsa_user_sgpr_queue_ptr 0
		.amdhsa_user_sgpr_kernarg_segment_ptr 1
		.amdhsa_user_sgpr_dispatch_id 0
		.amdhsa_user_sgpr_flat_scratch_init 0
		.amdhsa_user_sgpr_private_segment_size 0
		.amdhsa_uses_dynamic_stack 0
		.amdhsa_system_sgpr_private_segment_wavefront_offset 0
		.amdhsa_system_sgpr_workgroup_id_x 1
		.amdhsa_system_sgpr_workgroup_id_y 0
		.amdhsa_system_sgpr_workgroup_id_z 0
		.amdhsa_system_sgpr_workgroup_info 0
		.amdhsa_system_vgpr_workitem_id 0
		.amdhsa_next_free_vgpr 31
		.amdhsa_next_free_sgpr 28
		.amdhsa_reserve_vcc 1
		.amdhsa_reserve_flat_scratch 0
		.amdhsa_float_round_mode_32 0
		.amdhsa_float_round_mode_16_64 0
		.amdhsa_float_denorm_mode_32 3
		.amdhsa_float_denorm_mode_16_64 3
		.amdhsa_dx10_clamp 1
		.amdhsa_ieee_mode 1
		.amdhsa_fp16_overflow 0
		.amdhsa_exception_fp_ieee_invalid_op 0
		.amdhsa_exception_fp_denorm_src 0
		.amdhsa_exception_fp_ieee_div_zero 0
		.amdhsa_exception_fp_ieee_overflow 0
		.amdhsa_exception_fp_ieee_underflow 0
		.amdhsa_exception_fp_ieee_inexact 0
		.amdhsa_exception_int_div_zero 0
	.end_amdhsa_kernel
	.section	.text._Z16flag_sync_kernelILi2ELi0EEvP15transfer_data_tP16profiling_data_tm,"axG",@progbits,_Z16flag_sync_kernelILi2ELi0EEvP15transfer_data_tP16profiling_data_tm,comdat
.Lfunc_end5:
	.size	_Z16flag_sync_kernelILi2ELi0EEvP15transfer_data_tP16profiling_data_tm, .Lfunc_end5-_Z16flag_sync_kernelILi2ELi0EEvP15transfer_data_tP16profiling_data_tm
                                        ; -- End function
	.set _Z16flag_sync_kernelILi2ELi0EEvP15transfer_data_tP16profiling_data_tm.num_vgpr, 31
	.set _Z16flag_sync_kernelILi2ELi0EEvP15transfer_data_tP16profiling_data_tm.num_agpr, 0
	.set _Z16flag_sync_kernelILi2ELi0EEvP15transfer_data_tP16profiling_data_tm.numbered_sgpr, 28
	.set _Z16flag_sync_kernelILi2ELi0EEvP15transfer_data_tP16profiling_data_tm.num_named_barrier, 0
	.set _Z16flag_sync_kernelILi2ELi0EEvP15transfer_data_tP16profiling_data_tm.private_seg_size, 0
	.set _Z16flag_sync_kernelILi2ELi0EEvP15transfer_data_tP16profiling_data_tm.uses_vcc, 1
	.set _Z16flag_sync_kernelILi2ELi0EEvP15transfer_data_tP16profiling_data_tm.uses_flat_scratch, 0
	.set _Z16flag_sync_kernelILi2ELi0EEvP15transfer_data_tP16profiling_data_tm.has_dyn_sized_stack, 0
	.set _Z16flag_sync_kernelILi2ELi0EEvP15transfer_data_tP16profiling_data_tm.has_recursion, 0
	.set _Z16flag_sync_kernelILi2ELi0EEvP15transfer_data_tP16profiling_data_tm.has_indirect_call, 0
	.section	.AMDGPU.csdata,"",@progbits
; Kernel info:
; codeLenInByte = 1480
; TotalNumSgprs: 32
; NumVgprs: 31
; ScratchSize: 0
; MemoryBound: 0
; FloatMode: 240
; IeeeMode: 1
; LDSByteSize: 0 bytes/workgroup (compile time only)
; SGPRBlocks: 3
; VGPRBlocks: 7
; NumSGPRsForWavesPerEU: 32
; NumVGPRsForWavesPerEU: 31
; Occupancy: 8
; WaveLimiterHint : 1
; COMPUTE_PGM_RSRC2:SCRATCH_EN: 0
; COMPUTE_PGM_RSRC2:USER_SGPR: 6
; COMPUTE_PGM_RSRC2:TRAP_HANDLER: 0
; COMPUTE_PGM_RSRC2:TGID_X_EN: 1
; COMPUTE_PGM_RSRC2:TGID_Y_EN: 0
; COMPUTE_PGM_RSRC2:TGID_Z_EN: 0
; COMPUTE_PGM_RSRC2:TIDIG_COMP_CNT: 0
	.section	.text._Z16flag_sync_kernelILi2ELi1EEvP15transfer_data_tP16profiling_data_tm,"axG",@progbits,_Z16flag_sync_kernelILi2ELi1EEvP15transfer_data_tP16profiling_data_tm,comdat
	.protected	_Z16flag_sync_kernelILi2ELi1EEvP15transfer_data_tP16profiling_data_tm ; -- Begin function _Z16flag_sync_kernelILi2ELi1EEvP15transfer_data_tP16profiling_data_tm
	.globl	_Z16flag_sync_kernelILi2ELi1EEvP15transfer_data_tP16profiling_data_tm
	.p2align	8
	.type	_Z16flag_sync_kernelILi2ELi1EEvP15transfer_data_tP16profiling_data_tm,@function
_Z16flag_sync_kernelILi2ELi1EEvP15transfer_data_tP16profiling_data_tm: ; @_Z16flag_sync_kernelILi2ELi1EEvP15transfer_data_tP16profiling_data_tm
; %bb.0:
	s_mov_b64 s[26:27], s[2:3]
	s_mov_b64 s[24:25], s[0:1]
	s_load_dwordx4 s[8:11], s[4:5], 0x0
	s_load_dwordx2 s[2:3], s[4:5], 0x10
	s_add_u32 s24, s24, s7
	s_addc_u32 s25, s25, 0
	v_cmp_eq_u32_e64 s[0:1], 0, v0
	s_waitcnt lgkmcnt(0)
	s_load_dword s18, s[8:9], 0x8c0
	s_and_saveexec_b64 s[4:5], s[0:1]
	s_cbranch_execz .LBB6_10
; %bb.1:
	s_load_dword s12, s[8:9], 0x8c4
	s_load_dwordx2 s[16:17], s[8:9], 0x8d0
	s_mov_b64 s[14:15], src_private_base
	s_waitcnt lgkmcnt(0)
	s_ashr_i32 s13, s12, 31
	s_lshl_b64 s[12:13], s[12:13], 3
	s_add_u32 s12, s16, s12
	s_addc_u32 s13, s17, s13
	s_cmp_eq_u32 s13, s15
	s_cselect_b64 s[14:15], -1, 0
	s_andn2_b64 vcc, exec, s[14:15]
	s_mov_b64 s[14:15], -1
	s_cbranch_vccz .LBB6_3
; %bb.2:
	v_mov_b32_e32 v1, 1
	v_mov_b32_e32 v3, s12
	;; [unrolled: 1-line block ×4, first 2 shown]
	flat_atomic_add_x2 v[3:4], v[1:2]
	s_waitcnt vmcnt(0) lgkmcnt(0)
	buffer_wbinvl1_vol
	s_mov_b64 s[14:15], 0
.LBB6_3:
	s_andn2_b64 vcc, exec, s[14:15]
	s_cbranch_vccnz .LBB6_5
; %bb.4:
	s_cmp_lg_u64 s[12:13], 0
	s_cselect_b32 s7, s12, -1
	v_mov_b32_e32 v1, s7
	buffer_load_dword v2, v1, s[24:27], 0 offen
	buffer_load_dword v3, v1, s[24:27], 0 offen offset:4
	s_waitcnt vmcnt(1)
	v_add_co_u32_e32 v2, vcc, 1, v2
	s_waitcnt vmcnt(0)
	v_addc_co_u32_e32 v3, vcc, 0, v3, vcc
	buffer_store_dword v2, v1, s[24:27], 0 offen
	buffer_store_dword v3, v1, s[24:27], 0 offen offset:4
.LBB6_5:
	v_mov_b32_e32 v1, 0
	global_load_dword v2, v1, s[8:9] offset:2248
	s_waitcnt vmcnt(0)
	v_cmp_gt_i32_e32 vcc, 1, v2
	s_cbranch_vccnz .LBB6_10
; %bb.6:
	s_mov_b32 s13, 0
	s_mov_b32 s12, s13
.LBB6_7:                                ; =>This Loop Header: Depth=1
                                        ;     Child Loop BB6_8 Depth 2
	s_lshl_b64 s[16:17], s[12:13], 3
	s_mov_b64 s[14:15], 0
	v_mov_b32_e32 v2, s17
.LBB6_8:                                ;   Parent Loop BB6_7 Depth=1
                                        ; =>  This Inner Loop Header: Depth=2
	global_load_dwordx2 v[3:4], v1, s[8:9] offset:2256
	s_waitcnt vmcnt(0)
	v_add_co_u32_e32 v3, vcc, s16, v3
	v_addc_co_u32_e32 v4, vcc, v4, v2, vcc
	flat_load_dwordx2 v[3:4], v[3:4] glc
	s_waitcnt vmcnt(0) lgkmcnt(0)
	buffer_wbinvl1_vol
	v_cmp_le_u64_e32 vcc, s[2:3], v[3:4]
	s_or_b64 s[14:15], vcc, s[14:15]
	s_andn2_b64 exec, exec, s[14:15]
	s_cbranch_execnz .LBB6_8
; %bb.9:                                ;   in Loop: Header=BB6_7 Depth=1
	s_or_b64 exec, exec, s[14:15]
	global_load_dword v2, v1, s[8:9] offset:2248
	s_add_i32 s12, s12, 1
	s_waitcnt vmcnt(0)
	v_cmp_lt_i32_e32 vcc, s12, v2
	s_cbranch_vccnz .LBB6_7
.LBB6_10:
	s_or_b64 exec, exec, s[4:5]
	s_waitcnt lgkmcnt(0)
	s_barrier
                                        ; implicit-def: $sgpr12_sgpr13
	s_and_saveexec_b64 s[2:3], s[0:1]
; %bb.11:
	s_memrealtime s[12:13]
; %bb.12:
	s_or_b64 exec, exec, s[2:3]
	s_ashr_i32 s7, s6, 31
	s_cmp_lt_i32 s18, 1
	s_cbranch_scc1 .LBB6_34
; %bb.13:
	s_lshl_b64 s[2:3], s[6:7], 3
	s_add_u32 s2, s8, s2
	s_addc_u32 s3, s9, s3
	v_mov_b32_e32 v7, 0
	global_load_dwordx2 v[5:6], v7, s[2:3] offset:448
	global_load_dwordx2 v[1:2], v7, s[2:3] offset:896
	global_load_dwordx2 v[3:4], v7, s[2:3]
	v_lshrrev_b32_e32 v8, 6, v0
	v_and_b32_e32 v9, 63, v0
	s_mov_b32 s2, 0
	s_waitcnt vmcnt(0)
	v_or_b32_e32 v7, v3, v5
	v_or_b32_e32 v7, v7, v1
	v_and_b32_e32 v7, 3, v7
	v_cmp_eq_u32_e32 vcc, 0, v7
	v_lshl_or_b32 v7, v8, 8, v9
	s_cbranch_vccnz .LBB6_24
; %bb.14:
	v_lshl_or_b32 v8, v8, 8, v9
	s_mov_b64 s[8:9], -1
	s_cbranch_execnz .LBB6_25
.LBB6_15:
	s_lshr_b32 s2, s18, 2
	s_and_b32 s19, s2, 0x1fffff00
	v_cmp_gt_u32_e32 vcc, s19, v7
	s_and_saveexec_b64 s[14:15], vcc
	s_cbranch_execz .LBB6_18
; %bb.16:
	v_lshlrev_b32_e32 v12, 4, v7
	v_add_co_u32_e32 v8, vcc, v5, v12
	v_addc_co_u32_e32 v9, vcc, 0, v6, vcc
	v_add_co_u32_e32 v10, vcc, v1, v12
	v_addc_co_u32_e32 v11, vcc, 0, v2, vcc
	;; [unrolled: 2-line block ×3, first 2 shown]
	s_mov_b64 s[16:17], 0
	s_movk_i32 s20, 0x4000
	v_mov_b32_e32 v14, v7
.LBB6_17:                               ; =>This Inner Loop Header: Depth=1
	flat_load_dwordx4 v[15:18], v[8:9] glc slc
	flat_load_dwordx4 v[19:22], v[8:9] offset:1024 glc slc
	flat_load_dwordx4 v[23:26], v[8:9] offset:2048 glc slc
	;; [unrolled: 1-line block ×3, first 2 shown]
	v_add_u32_e32 v14, 0x400, v14
	v_cmp_le_u32_e32 vcc, s19, v14
	s_or_b64 s[16:17], vcc, s[16:17]
	s_waitcnt vmcnt(0) lgkmcnt(0)
	flat_store_dwordx4 v[12:13], v[15:18] glc slc
	flat_store_dwordx4 v[12:13], v[19:22] offset:1024 glc slc
	flat_store_dwordx4 v[12:13], v[23:26] offset:2048 glc slc
	;; [unrolled: 1-line block ×3, first 2 shown]
	flat_store_dwordx4 v[10:11], v[15:18] glc slc
	flat_store_dwordx4 v[10:11], v[19:22] offset:1024 glc slc
	flat_store_dwordx4 v[10:11], v[23:26] offset:2048 glc slc
	;; [unrolled: 1-line block ×3, first 2 shown]
	v_add_co_u32_e32 v12, vcc, s20, v12
	s_mov_b64 s[2:3], vcc
	v_add_co_u32_e32 v10, vcc, 0x4000, v10
	s_mov_b64 s[4:5], vcc
	v_addc_co_u32_e64 v13, vcc, 0, v13, s[2:3]
	v_add_co_u32_e32 v8, vcc, 0x4000, v8
	v_addc_co_u32_e64 v11, s[2:3], 0, v11, s[4:5]
	v_addc_co_u32_e32 v9, vcc, 0, v9, vcc
	s_andn2_b64 exec, exec, s[16:17]
	s_cbranch_execnz .LBB6_17
.LBB6_18:
	s_or_b64 exec, exec, s[14:15]
	s_lshl_b32 s2, s19, 2
	s_cmp_eq_u32 s18, s2
	s_cbranch_scc1 .LBB6_26
; %bb.19:
	s_sub_i32 s16, s18, s2
	s_ashr_i32 s17, s16, 2
	v_cmp_gt_i32_e32 vcc, s17, v0
	s_and_saveexec_b64 s[4:5], vcc
	s_cbranch_execz .LBB6_22
; %bb.20:
	s_mov_b32 s3, 0
	s_lshl_b64 s[14:15], s[2:3], 2
	v_mov_b32_e32 v12, s15
	v_add_co_u32_e32 v8, vcc, s14, v5
	v_addc_co_u32_e32 v9, vcc, v6, v12, vcc
	v_lshlrev_b32_e32 v13, 4, v0
	v_add_co_u32_e32 v8, vcc, v8, v13
	v_addc_co_u32_e32 v9, vcc, 0, v9, vcc
	v_add_co_u32_e32 v10, vcc, s14, v3
	v_addc_co_u32_e32 v11, vcc, v4, v12, vcc
	;; [unrolled: 2-line block ×5, first 2 shown]
	s_mov_b64 s[14:15], 0
	v_mov_b32_e32 v14, v0
.LBB6_21:                               ; =>This Inner Loop Header: Depth=1
	flat_load_dwordx4 v[15:18], v[8:9] glc slc
	v_add_u32_e32 v14, 0x100, v14
	v_cmp_le_i32_e32 vcc, s17, v14
	s_or_b64 s[14:15], vcc, s[14:15]
	s_waitcnt vmcnt(0) lgkmcnt(0)
	flat_store_dwordx4 v[10:11], v[15:18]
	flat_store_dwordx4 v[12:13], v[15:18]
	v_add_co_u32_e32 v10, vcc, 0x1000, v10
	v_addc_co_u32_e32 v11, vcc, 0, v11, vcc
	v_add_co_u32_e32 v12, vcc, 0x1000, v12
	v_addc_co_u32_e32 v13, vcc, 0, v13, vcc
	;; [unrolled: 2-line block ×3, first 2 shown]
	s_andn2_b64 exec, exec, s[14:15]
	s_cbranch_execnz .LBB6_21
.LBB6_22:
	s_or_b64 exec, exec, s[4:5]
	s_and_b32 s14, s18, 3
	s_cmp_eq_u32 s14, 0
	s_cbranch_scc1 .LBB6_27
; %bb.23:
	s_and_b32 s3, s16, -4
	s_add_i32 s2, s3, s2
	s_cbranch_execnz .LBB6_28
	s_branch .LBB6_34
.LBB6_24:
	s_mov_b64 s[8:9], 0
                                        ; implicit-def: $vgpr8
	s_branch .LBB6_15
.LBB6_25:
	s_mov_b32 s14, s18
	v_mov_b32_e32 v7, v8
	s_and_b64 vcc, exec, s[8:9]
	s_cbranch_vccnz .LBB6_28
	s_branch .LBB6_34
.LBB6_26:
                                        ; implicit-def: $sgpr14
.LBB6_27:
                                        ; implicit-def: $sgpr2
	s_and_b64 vcc, exec, s[8:9]
	s_cbranch_vccz .LBB6_34
.LBB6_28:
	s_and_b32 s15, s14, 0x7fffff00
	v_cmp_gt_u32_e32 vcc, s15, v7
	s_and_saveexec_b64 s[4:5], vcc
	s_cbranch_execz .LBB6_31
; %bb.29:
	s_ashr_i32 s3, s2, 31
	s_lshl_b64 s[8:9], s[2:3], 2
	v_mov_b32_e32 v8, 0
	v_mov_b32_e32 v14, s9
	v_add_co_u32_e32 v9, vcc, s8, v5
	v_lshlrev_b64 v[12:13], 2, v[7:8]
	v_addc_co_u32_e32 v10, vcc, v6, v14, vcc
	v_add_co_u32_e32 v8, vcc, v9, v12
	v_addc_co_u32_e32 v9, vcc, v10, v13, vcc
	v_add_co_u32_e32 v10, vcc, s8, v3
	v_addc_co_u32_e32 v11, vcc, v4, v14, vcc
	v_add_co_u32_e32 v10, vcc, v10, v12
	v_addc_co_u32_e32 v11, vcc, v11, v13, vcc
	v_add_co_u32_e32 v15, vcc, s8, v1
	v_addc_co_u32_e32 v14, vcc, v2, v14, vcc
	v_add_co_u32_e32 v12, vcc, v15, v12
	v_addc_co_u32_e32 v13, vcc, v14, v13, vcc
	s_mov_b64 s[8:9], 0
	s_movk_i32 s3, 0x1000
.LBB6_30:                               ; =>This Inner Loop Header: Depth=1
	flat_load_dword v14, v[8:9] glc slc
	flat_load_dword v15, v[8:9] offset:256 glc slc
	flat_load_dword v16, v[8:9] offset:512 glc slc
	;; [unrolled: 1-line block ×3, first 2 shown]
	v_add_u32_e32 v7, 0x400, v7
	v_cmp_le_u32_e32 vcc, s15, v7
	s_or_b64 s[8:9], vcc, s[8:9]
	s_waitcnt vmcnt(0) lgkmcnt(0)
	flat_store_dword v[10:11], v14 glc slc
	flat_store_dword v[10:11], v15 offset:256 glc slc
	flat_store_dword v[10:11], v16 offset:512 glc slc
	;; [unrolled: 1-line block ×3, first 2 shown]
	flat_store_dword v[12:13], v14 glc slc
	flat_store_dword v[12:13], v15 offset:256 glc slc
	flat_store_dword v[12:13], v16 offset:512 glc slc
	;; [unrolled: 1-line block ×3, first 2 shown]
	v_add_co_u32_e32 v10, vcc, s3, v10
	v_addc_co_u32_e32 v11, vcc, 0, v11, vcc
	v_add_co_u32_e32 v12, vcc, 0x1000, v12
	v_addc_co_u32_e32 v13, vcc, 0, v13, vcc
	v_add_co_u32_e32 v8, vcc, 0x1000, v8
	v_addc_co_u32_e32 v9, vcc, 0, v9, vcc
	s_andn2_b64 exec, exec, s[8:9]
	s_cbranch_execnz .LBB6_30
.LBB6_31:
	s_or_b64 exec, exec, s[4:5]
	s_and_b32 s3, s14, 0xff
	s_cmp_lg_u32 s3, 0
	s_cselect_b64 s[4:5], -1, 0
	v_cmp_gt_u32_e32 vcc, s3, v0
	s_and_b64 s[8:9], s[4:5], vcc
	s_and_saveexec_b64 s[4:5], s[8:9]
	s_cbranch_execz .LBB6_33
; %bb.32:
	s_add_i32 s2, s15, s2
	s_ashr_i32 s3, s2, 31
	s_lshl_b64 s[2:3], s[2:3], 2
	v_mov_b32_e32 v7, s3
	v_add_co_u32_e32 v5, vcc, s2, v5
	v_addc_co_u32_e32 v6, vcc, v6, v7, vcc
	v_lshlrev_b32_e32 v8, 2, v0
	v_add_co_u32_e32 v5, vcc, v5, v8
	v_addc_co_u32_e32 v6, vcc, 0, v6, vcc
	flat_load_dword v5, v[5:6] glc slc
	v_add_co_u32_e32 v0, vcc, s2, v3
	v_addc_co_u32_e32 v3, vcc, v4, v7, vcc
	v_add_co_u32_e32 v4, vcc, s2, v1
	v_addc_co_u32_e32 v6, vcc, v2, v7, vcc
	;; [unrolled: 2-line block ×4, first 2 shown]
	s_waitcnt vmcnt(0) lgkmcnt(0)
	flat_store_dword v[0:1], v5 glc slc
	flat_store_dword v[2:3], v5 glc slc
.LBB6_33:
	s_or_b64 exec, exec, s[4:5]
.LBB6_34:
	s_waitcnt vmcnt(0) lgkmcnt(0)
	s_barrier
	s_and_saveexec_b64 s[2:3], s[0:1]
	s_cbranch_execz .LBB6_39
; %bb.35:
	s_lshl_b64 s[0:1], s[6:7], 3
	s_memrealtime s[6:7]
	s_mov_b64 s[4:5], exec
	v_mbcnt_lo_u32_b32 v0, s4, 0
	s_add_u32 s0, s10, s0
	v_mbcnt_hi_u32_b32 v0, s5, v0
	s_addc_u32 s1, s11, s1
	v_cmp_eq_u32_e32 vcc, 0, v0
	s_and_saveexec_b64 s[2:3], vcc
	s_cbranch_execz .LBB6_37
; %bb.36:
	s_waitcnt lgkmcnt(0)
	s_sub_u32 s6, s6, s12
	s_subb_u32 s7, s7, s13
	s_bcnt1_i32_b64 s4, s[4:5]
	s_mul_i32 s7, s7, s4
	s_mul_hi_u32 s5, s6, s4
	s_add_i32 s5, s5, s7
	s_mul_i32 s6, s6, s4
	v_mov_b32_e32 v0, s6
	v_mov_b32_e32 v1, s5
	;; [unrolled: 1-line block ×3, first 2 shown]
	global_atomic_add_x2 v2, v[0:1], s[0:1]
	s_waitcnt vmcnt(0)
	buffer_wbinvl1_vol
.LBB6_37:
	s_or_b64 exec, exec, s[2:3]
	s_mov_b64 s[2:3], exec
	v_mbcnt_lo_u32_b32 v0, s2, 0
	v_mbcnt_hi_u32_b32 v0, s3, v0
	v_cmp_eq_u32_e32 vcc, 0, v0
	s_and_b64 s[4:5], exec, vcc
	s_mov_b64 exec, s[4:5]
	s_cbranch_execz .LBB6_39
; %bb.38:
	s_bcnt1_i32_b64 s2, s[2:3]
	s_mul_hi_i32 s3, s18, s2
	s_mul_i32 s2, s18, s2
	s_lshl_b64 s[2:3], s[2:3], 2
	v_mov_b32_e32 v0, s2
	v_mov_b32_e32 v2, 0
	v_mov_b32_e32 v1, s3
	s_waitcnt lgkmcnt(0)
	global_atomic_add_x2 v2, v[0:1], s[0:1] offset:448
	s_waitcnt vmcnt(0)
	buffer_wbinvl1_vol
.LBB6_39:
	s_endpgm
	.section	.rodata,"a",@progbits
	.p2align	6, 0x0
	.amdhsa_kernel _Z16flag_sync_kernelILi2ELi1EEvP15transfer_data_tP16profiling_data_tm
		.amdhsa_group_segment_fixed_size 0
		.amdhsa_private_segment_fixed_size 0
		.amdhsa_kernarg_size 24
		.amdhsa_user_sgpr_count 6
		.amdhsa_user_sgpr_private_segment_buffer 1
		.amdhsa_user_sgpr_dispatch_ptr 0
		.amdhsa_user_sgpr_queue_ptr 0
		.amdhsa_user_sgpr_kernarg_segment_ptr 1
		.amdhsa_user_sgpr_dispatch_id 0
		.amdhsa_user_sgpr_flat_scratch_init 0
		.amdhsa_user_sgpr_private_segment_size 0
		.amdhsa_uses_dynamic_stack 0
		.amdhsa_system_sgpr_private_segment_wavefront_offset 0
		.amdhsa_system_sgpr_workgroup_id_x 1
		.amdhsa_system_sgpr_workgroup_id_y 0
		.amdhsa_system_sgpr_workgroup_id_z 0
		.amdhsa_system_sgpr_workgroup_info 0
		.amdhsa_system_vgpr_workitem_id 0
		.amdhsa_next_free_vgpr 31
		.amdhsa_next_free_sgpr 28
		.amdhsa_reserve_vcc 1
		.amdhsa_reserve_flat_scratch 0
		.amdhsa_float_round_mode_32 0
		.amdhsa_float_round_mode_16_64 0
		.amdhsa_float_denorm_mode_32 3
		.amdhsa_float_denorm_mode_16_64 3
		.amdhsa_dx10_clamp 1
		.amdhsa_ieee_mode 1
		.amdhsa_fp16_overflow 0
		.amdhsa_exception_fp_ieee_invalid_op 0
		.amdhsa_exception_fp_denorm_src 0
		.amdhsa_exception_fp_ieee_div_zero 0
		.amdhsa_exception_fp_ieee_overflow 0
		.amdhsa_exception_fp_ieee_underflow 0
		.amdhsa_exception_fp_ieee_inexact 0
		.amdhsa_exception_int_div_zero 0
	.end_amdhsa_kernel
	.section	.text._Z16flag_sync_kernelILi2ELi1EEvP15transfer_data_tP16profiling_data_tm,"axG",@progbits,_Z16flag_sync_kernelILi2ELi1EEvP15transfer_data_tP16profiling_data_tm,comdat
.Lfunc_end6:
	.size	_Z16flag_sync_kernelILi2ELi1EEvP15transfer_data_tP16profiling_data_tm, .Lfunc_end6-_Z16flag_sync_kernelILi2ELi1EEvP15transfer_data_tP16profiling_data_tm
                                        ; -- End function
	.set _Z16flag_sync_kernelILi2ELi1EEvP15transfer_data_tP16profiling_data_tm.num_vgpr, 31
	.set _Z16flag_sync_kernelILi2ELi1EEvP15transfer_data_tP16profiling_data_tm.num_agpr, 0
	.set _Z16flag_sync_kernelILi2ELi1EEvP15transfer_data_tP16profiling_data_tm.numbered_sgpr, 28
	.set _Z16flag_sync_kernelILi2ELi1EEvP15transfer_data_tP16profiling_data_tm.num_named_barrier, 0
	.set _Z16flag_sync_kernelILi2ELi1EEvP15transfer_data_tP16profiling_data_tm.private_seg_size, 0
	.set _Z16flag_sync_kernelILi2ELi1EEvP15transfer_data_tP16profiling_data_tm.uses_vcc, 1
	.set _Z16flag_sync_kernelILi2ELi1EEvP15transfer_data_tP16profiling_data_tm.uses_flat_scratch, 0
	.set _Z16flag_sync_kernelILi2ELi1EEvP15transfer_data_tP16profiling_data_tm.has_dyn_sized_stack, 0
	.set _Z16flag_sync_kernelILi2ELi1EEvP15transfer_data_tP16profiling_data_tm.has_recursion, 0
	.set _Z16flag_sync_kernelILi2ELi1EEvP15transfer_data_tP16profiling_data_tm.has_indirect_call, 0
	.section	.AMDGPU.csdata,"",@progbits
; Kernel info:
; codeLenInByte = 1616
; TotalNumSgprs: 32
; NumVgprs: 31
; ScratchSize: 0
; MemoryBound: 0
; FloatMode: 240
; IeeeMode: 1
; LDSByteSize: 0 bytes/workgroup (compile time only)
; SGPRBlocks: 3
; VGPRBlocks: 7
; NumSGPRsForWavesPerEU: 32
; NumVGPRsForWavesPerEU: 31
; Occupancy: 8
; WaveLimiterHint : 1
; COMPUTE_PGM_RSRC2:SCRATCH_EN: 0
; COMPUTE_PGM_RSRC2:USER_SGPR: 6
; COMPUTE_PGM_RSRC2:TRAP_HANDLER: 0
; COMPUTE_PGM_RSRC2:TGID_X_EN: 1
; COMPUTE_PGM_RSRC2:TGID_Y_EN: 0
; COMPUTE_PGM_RSRC2:TGID_Z_EN: 0
; COMPUTE_PGM_RSRC2:TIDIG_COMP_CNT: 0
	.section	.text._Z16flag_sync_kernelILi3ELi0EEvP15transfer_data_tP16profiling_data_tm,"axG",@progbits,_Z16flag_sync_kernelILi3ELi0EEvP15transfer_data_tP16profiling_data_tm,comdat
	.protected	_Z16flag_sync_kernelILi3ELi0EEvP15transfer_data_tP16profiling_data_tm ; -- Begin function _Z16flag_sync_kernelILi3ELi0EEvP15transfer_data_tP16profiling_data_tm
	.globl	_Z16flag_sync_kernelILi3ELi0EEvP15transfer_data_tP16profiling_data_tm
	.p2align	8
	.type	_Z16flag_sync_kernelILi3ELi0EEvP15transfer_data_tP16profiling_data_tm,@function
_Z16flag_sync_kernelILi3ELi0EEvP15transfer_data_tP16profiling_data_tm: ; @_Z16flag_sync_kernelILi3ELi0EEvP15transfer_data_tP16profiling_data_tm
; %bb.0:
	s_load_dwordx4 s[8:11], s[4:5], 0x0
	s_mov_b64 s[26:27], s[2:3]
	s_mov_b64 s[24:25], s[0:1]
	s_add_u32 s24, s24, s7
	s_addc_u32 s25, s25, 0
	s_waitcnt lgkmcnt(0)
	s_load_dword s18, s[8:9], 0x8c0
	v_cmp_eq_u32_e64 s[0:1], 0, v0
	s_and_saveexec_b64 s[2:3], s[0:1]
	s_cbranch_execz .LBB7_5
; %bb.1:
	s_load_dword s4, s[8:9], 0x8c4
	s_load_dwordx2 s[14:15], s[8:9], 0x8d0
	s_mov_b64 s[12:13], src_private_base
	s_waitcnt lgkmcnt(0)
	s_ashr_i32 s5, s4, 31
	s_lshl_b64 s[4:5], s[4:5], 3
	s_add_u32 s4, s14, s4
	s_addc_u32 s5, s15, s5
	s_cmp_eq_u32 s5, s13
	s_cselect_b64 s[12:13], -1, 0
	s_andn2_b64 vcc, exec, s[12:13]
	s_mov_b64 s[12:13], -1
	s_cbranch_vccz .LBB7_3
; %bb.2:
	v_mov_b32_e32 v1, 1
	v_mov_b32_e32 v3, s4
	;; [unrolled: 1-line block ×4, first 2 shown]
	flat_atomic_add_x2 v[3:4], v[1:2]
	s_waitcnt vmcnt(0) lgkmcnt(0)
	buffer_wbinvl1_vol
	s_mov_b64 s[12:13], 0
.LBB7_3:
	s_andn2_b64 vcc, exec, s[12:13]
	s_cbranch_vccnz .LBB7_5
; %bb.4:
	s_cmp_lg_u64 s[4:5], 0
	s_cselect_b32 s4, s4, -1
	v_mov_b32_e32 v1, s4
	buffer_load_dword v2, v1, s[24:27], 0 offen
	buffer_load_dword v3, v1, s[24:27], 0 offen offset:4
	s_waitcnt vmcnt(1)
	v_add_co_u32_e32 v2, vcc, 1, v2
	s_waitcnt vmcnt(0)
	v_addc_co_u32_e32 v3, vcc, 0, v3, vcc
	buffer_store_dword v2, v1, s[24:27], 0 offen
	buffer_store_dword v3, v1, s[24:27], 0 offen offset:4
.LBB7_5:
	s_or_b64 exec, exec, s[2:3]
	s_waitcnt vmcnt(0) lgkmcnt(0)
	s_barrier
                                        ; implicit-def: $sgpr12_sgpr13
	s_and_saveexec_b64 s[2:3], s[0:1]
; %bb.6:
	s_memrealtime s[12:13]
; %bb.7:
	s_or_b64 exec, exec, s[2:3]
	s_ashr_i32 s7, s6, 31
	s_cmp_lt_i32 s18, 1
	s_cbranch_scc1 .LBB7_29
; %bb.8:
	s_lshl_b64 s[2:3], s[6:7], 3
	s_add_u32 s2, s8, s2
	s_addc_u32 s3, s9, s3
	v_mov_b32_e32 v7, 0
	global_load_dwordx2 v[5:6], v7, s[2:3] offset:448
	global_load_dwordx2 v[3:4], v7, s[2:3] offset:896
	;; [unrolled: 1-line block ×3, first 2 shown]
	v_lshrrev_b32_e32 v8, 6, v0
	v_and_b32_e32 v9, 63, v0
	s_mov_b32 s2, 0
	s_waitcnt vmcnt(1)
	v_or_b32_e32 v7, v3, v5
	s_waitcnt vmcnt(0)
	v_or_b32_e32 v7, v7, v1
	v_and_b32_e32 v7, 3, v7
	v_cmp_eq_u32_e32 vcc, 0, v7
	v_lshl_or_b32 v7, v8, 8, v9
	s_cbranch_vccnz .LBB7_19
; %bb.9:
	v_lshl_or_b32 v8, v8, 8, v9
	s_mov_b64 s[8:9], -1
	s_cbranch_execnz .LBB7_20
.LBB7_10:
	s_lshr_b32 s2, s18, 2
	s_and_b32 s19, s2, 0x1fffff00
	v_cmp_gt_u32_e32 vcc, s19, v7
	s_and_saveexec_b64 s[14:15], vcc
	s_cbranch_execz .LBB7_13
; %bb.11:
	v_lshlrev_b32_e32 v12, 4, v7
	v_add_co_u32_e32 v8, vcc, v5, v12
	v_addc_co_u32_e32 v9, vcc, 0, v6, vcc
	v_add_co_u32_e32 v10, vcc, v1, v12
	v_addc_co_u32_e32 v11, vcc, 0, v2, vcc
	;; [unrolled: 2-line block ×3, first 2 shown]
	s_mov_b64 s[16:17], 0
	s_movk_i32 s20, 0x4000
	v_mov_b32_e32 v14, v7
.LBB7_12:                               ; =>This Inner Loop Header: Depth=1
	flat_load_dwordx4 v[15:18], v[8:9] glc slc
	flat_load_dwordx4 v[19:22], v[8:9] offset:1024 glc slc
	flat_load_dwordx4 v[23:26], v[8:9] offset:2048 glc slc
	;; [unrolled: 1-line block ×3, first 2 shown]
	v_add_u32_e32 v14, 0x400, v14
	v_cmp_le_u32_e32 vcc, s19, v14
	s_or_b64 s[16:17], vcc, s[16:17]
	s_waitcnt vmcnt(0) lgkmcnt(0)
	flat_store_dwordx4 v[12:13], v[15:18] glc slc
	flat_store_dwordx4 v[12:13], v[19:22] offset:1024 glc slc
	flat_store_dwordx4 v[12:13], v[23:26] offset:2048 glc slc
	;; [unrolled: 1-line block ×3, first 2 shown]
	flat_store_dwordx4 v[10:11], v[15:18] glc slc
	flat_store_dwordx4 v[10:11], v[19:22] offset:1024 glc slc
	flat_store_dwordx4 v[10:11], v[23:26] offset:2048 glc slc
	;; [unrolled: 1-line block ×3, first 2 shown]
	v_add_co_u32_e32 v12, vcc, s20, v12
	s_mov_b64 s[2:3], vcc
	v_add_co_u32_e32 v10, vcc, 0x4000, v10
	s_mov_b64 s[4:5], vcc
	v_addc_co_u32_e64 v13, vcc, 0, v13, s[2:3]
	v_add_co_u32_e32 v8, vcc, 0x4000, v8
	v_addc_co_u32_e64 v11, s[2:3], 0, v11, s[4:5]
	v_addc_co_u32_e32 v9, vcc, 0, v9, vcc
	s_andn2_b64 exec, exec, s[16:17]
	s_cbranch_execnz .LBB7_12
.LBB7_13:
	s_or_b64 exec, exec, s[14:15]
	s_lshl_b32 s2, s19, 2
	s_cmp_eq_u32 s18, s2
	s_cbranch_scc1 .LBB7_21
; %bb.14:
	s_sub_i32 s16, s18, s2
	s_ashr_i32 s17, s16, 2
	v_cmp_gt_i32_e32 vcc, s17, v0
	s_and_saveexec_b64 s[4:5], vcc
	s_cbranch_execz .LBB7_17
; %bb.15:
	s_mov_b32 s3, 0
	s_lshl_b64 s[14:15], s[2:3], 2
	v_mov_b32_e32 v12, s15
	v_add_co_u32_e32 v8, vcc, s14, v5
	v_addc_co_u32_e32 v9, vcc, v6, v12, vcc
	v_lshlrev_b32_e32 v13, 4, v0
	v_add_co_u32_e32 v8, vcc, v8, v13
	v_addc_co_u32_e32 v9, vcc, 0, v9, vcc
	v_add_co_u32_e32 v10, vcc, s14, v3
	v_addc_co_u32_e32 v11, vcc, v4, v12, vcc
	;; [unrolled: 2-line block ×5, first 2 shown]
	s_mov_b64 s[14:15], 0
	v_mov_b32_e32 v14, v0
.LBB7_16:                               ; =>This Inner Loop Header: Depth=1
	flat_load_dwordx4 v[15:18], v[8:9] glc slc
	v_add_u32_e32 v14, 0x100, v14
	v_cmp_le_i32_e32 vcc, s17, v14
	s_or_b64 s[14:15], vcc, s[14:15]
	s_waitcnt vmcnt(0) lgkmcnt(0)
	flat_store_dwordx4 v[10:11], v[15:18]
	flat_store_dwordx4 v[12:13], v[15:18]
	v_add_co_u32_e32 v10, vcc, 0x1000, v10
	v_addc_co_u32_e32 v11, vcc, 0, v11, vcc
	v_add_co_u32_e32 v12, vcc, 0x1000, v12
	v_addc_co_u32_e32 v13, vcc, 0, v13, vcc
	;; [unrolled: 2-line block ×3, first 2 shown]
	s_andn2_b64 exec, exec, s[14:15]
	s_cbranch_execnz .LBB7_16
.LBB7_17:
	s_or_b64 exec, exec, s[4:5]
	s_and_b32 s14, s18, 3
	s_cmp_eq_u32 s14, 0
	s_cbranch_scc1 .LBB7_22
; %bb.18:
	s_and_b32 s3, s16, -4
	s_add_i32 s2, s3, s2
	s_cbranch_execnz .LBB7_23
	s_branch .LBB7_29
.LBB7_19:
	s_mov_b64 s[8:9], 0
                                        ; implicit-def: $vgpr8
	s_branch .LBB7_10
.LBB7_20:
	s_mov_b32 s14, s18
	v_mov_b32_e32 v7, v8
	s_and_b64 vcc, exec, s[8:9]
	s_cbranch_vccnz .LBB7_23
	s_branch .LBB7_29
.LBB7_21:
                                        ; implicit-def: $sgpr14
.LBB7_22:
                                        ; implicit-def: $sgpr2
	s_and_b64 vcc, exec, s[8:9]
	s_cbranch_vccz .LBB7_29
.LBB7_23:
	s_and_b32 s15, s14, 0x7fffff00
	v_cmp_gt_u32_e32 vcc, s15, v7
	s_and_saveexec_b64 s[4:5], vcc
	s_cbranch_execz .LBB7_26
; %bb.24:
	s_ashr_i32 s3, s2, 31
	s_lshl_b64 s[8:9], s[2:3], 2
	v_mov_b32_e32 v8, 0
	v_mov_b32_e32 v14, s9
	v_add_co_u32_e32 v9, vcc, s8, v5
	v_lshlrev_b64 v[12:13], 2, v[7:8]
	v_addc_co_u32_e32 v10, vcc, v6, v14, vcc
	v_add_co_u32_e32 v8, vcc, v9, v12
	v_addc_co_u32_e32 v9, vcc, v10, v13, vcc
	v_add_co_u32_e32 v10, vcc, s8, v3
	;; [unrolled: 2-line block ×5, first 2 shown]
	v_addc_co_u32_e32 v13, vcc, v14, v13, vcc
	s_mov_b64 s[8:9], 0
	s_movk_i32 s3, 0x1000
.LBB7_25:                               ; =>This Inner Loop Header: Depth=1
	flat_load_dword v14, v[8:9] glc slc
	flat_load_dword v15, v[8:9] offset:256 glc slc
	flat_load_dword v16, v[8:9] offset:512 glc slc
	;; [unrolled: 1-line block ×3, first 2 shown]
	v_add_u32_e32 v7, 0x400, v7
	v_cmp_le_u32_e32 vcc, s15, v7
	s_or_b64 s[8:9], vcc, s[8:9]
	s_waitcnt vmcnt(0) lgkmcnt(0)
	flat_store_dword v[10:11], v14 glc slc
	flat_store_dword v[10:11], v15 offset:256 glc slc
	flat_store_dword v[10:11], v16 offset:512 glc slc
	;; [unrolled: 1-line block ×3, first 2 shown]
	flat_store_dword v[12:13], v14 glc slc
	flat_store_dword v[12:13], v15 offset:256 glc slc
	flat_store_dword v[12:13], v16 offset:512 glc slc
	;; [unrolled: 1-line block ×3, first 2 shown]
	v_add_co_u32_e32 v10, vcc, s3, v10
	v_addc_co_u32_e32 v11, vcc, 0, v11, vcc
	v_add_co_u32_e32 v12, vcc, 0x1000, v12
	v_addc_co_u32_e32 v13, vcc, 0, v13, vcc
	;; [unrolled: 2-line block ×3, first 2 shown]
	s_andn2_b64 exec, exec, s[8:9]
	s_cbranch_execnz .LBB7_25
.LBB7_26:
	s_or_b64 exec, exec, s[4:5]
	s_and_b32 s3, s14, 0xff
	s_cmp_lg_u32 s3, 0
	s_cselect_b64 s[4:5], -1, 0
	v_cmp_gt_u32_e32 vcc, s3, v0
	s_and_b64 s[8:9], s[4:5], vcc
	s_and_saveexec_b64 s[4:5], s[8:9]
	s_cbranch_execz .LBB7_28
; %bb.27:
	s_add_i32 s2, s15, s2
	s_ashr_i32 s3, s2, 31
	s_lshl_b64 s[2:3], s[2:3], 2
	v_mov_b32_e32 v7, s3
	v_add_co_u32_e32 v5, vcc, s2, v5
	v_addc_co_u32_e32 v6, vcc, v6, v7, vcc
	v_lshlrev_b32_e32 v8, 2, v0
	v_add_co_u32_e32 v5, vcc, v5, v8
	v_addc_co_u32_e32 v6, vcc, 0, v6, vcc
	flat_load_dword v5, v[5:6] glc slc
	v_add_co_u32_e32 v0, vcc, s2, v3
	v_addc_co_u32_e32 v3, vcc, v4, v7, vcc
	v_add_co_u32_e32 v4, vcc, s2, v1
	v_addc_co_u32_e32 v6, vcc, v2, v7, vcc
	;; [unrolled: 2-line block ×4, first 2 shown]
	s_waitcnt vmcnt(0) lgkmcnt(0)
	flat_store_dword v[0:1], v5 glc slc
	flat_store_dword v[2:3], v5 glc slc
.LBB7_28:
	s_or_b64 exec, exec, s[4:5]
.LBB7_29:
	s_waitcnt vmcnt(0) lgkmcnt(0)
	s_barrier
	s_and_saveexec_b64 s[2:3], s[0:1]
	s_cbranch_execz .LBB7_34
; %bb.30:
	s_lshl_b64 s[0:1], s[6:7], 3
	s_memrealtime s[6:7]
	s_mov_b64 s[4:5], exec
	v_mbcnt_lo_u32_b32 v0, s4, 0
	s_add_u32 s0, s10, s0
	v_mbcnt_hi_u32_b32 v0, s5, v0
	s_addc_u32 s1, s11, s1
	v_cmp_eq_u32_e32 vcc, 0, v0
	s_and_saveexec_b64 s[2:3], vcc
	s_cbranch_execz .LBB7_32
; %bb.31:
	s_waitcnt lgkmcnt(0)
	s_sub_u32 s6, s6, s12
	s_subb_u32 s7, s7, s13
	s_bcnt1_i32_b64 s4, s[4:5]
	s_mul_i32 s7, s7, s4
	s_mul_hi_u32 s5, s6, s4
	s_add_i32 s5, s5, s7
	s_mul_i32 s6, s6, s4
	v_mov_b32_e32 v0, s6
	v_mov_b32_e32 v1, s5
	;; [unrolled: 1-line block ×3, first 2 shown]
	global_atomic_add_x2 v2, v[0:1], s[0:1]
	s_waitcnt vmcnt(0)
	buffer_wbinvl1_vol
.LBB7_32:
	s_or_b64 exec, exec, s[2:3]
	s_mov_b64 s[2:3], exec
	v_mbcnt_lo_u32_b32 v0, s2, 0
	v_mbcnt_hi_u32_b32 v0, s3, v0
	v_cmp_eq_u32_e32 vcc, 0, v0
	s_and_b64 s[4:5], exec, vcc
	s_mov_b64 exec, s[4:5]
	s_cbranch_execz .LBB7_34
; %bb.33:
	s_bcnt1_i32_b64 s2, s[2:3]
	s_mul_hi_i32 s3, s18, s2
	s_mul_i32 s2, s18, s2
	s_lshl_b64 s[2:3], s[2:3], 2
	v_mov_b32_e32 v0, s2
	v_mov_b32_e32 v2, 0
	;; [unrolled: 1-line block ×3, first 2 shown]
	s_waitcnt lgkmcnt(0)
	global_atomic_add_x2 v2, v[0:1], s[0:1] offset:448
	s_waitcnt vmcnt(0)
	buffer_wbinvl1_vol
.LBB7_34:
	s_endpgm
	.section	.rodata,"a",@progbits
	.p2align	6, 0x0
	.amdhsa_kernel _Z16flag_sync_kernelILi3ELi0EEvP15transfer_data_tP16profiling_data_tm
		.amdhsa_group_segment_fixed_size 0
		.amdhsa_private_segment_fixed_size 0
		.amdhsa_kernarg_size 24
		.amdhsa_user_sgpr_count 6
		.amdhsa_user_sgpr_private_segment_buffer 1
		.amdhsa_user_sgpr_dispatch_ptr 0
		.amdhsa_user_sgpr_queue_ptr 0
		.amdhsa_user_sgpr_kernarg_segment_ptr 1
		.amdhsa_user_sgpr_dispatch_id 0
		.amdhsa_user_sgpr_flat_scratch_init 0
		.amdhsa_user_sgpr_private_segment_size 0
		.amdhsa_uses_dynamic_stack 0
		.amdhsa_system_sgpr_private_segment_wavefront_offset 0
		.amdhsa_system_sgpr_workgroup_id_x 1
		.amdhsa_system_sgpr_workgroup_id_y 0
		.amdhsa_system_sgpr_workgroup_id_z 0
		.amdhsa_system_sgpr_workgroup_info 0
		.amdhsa_system_vgpr_workitem_id 0
		.amdhsa_next_free_vgpr 31
		.amdhsa_next_free_sgpr 28
		.amdhsa_reserve_vcc 1
		.amdhsa_reserve_flat_scratch 0
		.amdhsa_float_round_mode_32 0
		.amdhsa_float_round_mode_16_64 0
		.amdhsa_float_denorm_mode_32 3
		.amdhsa_float_denorm_mode_16_64 3
		.amdhsa_dx10_clamp 1
		.amdhsa_ieee_mode 1
		.amdhsa_fp16_overflow 0
		.amdhsa_exception_fp_ieee_invalid_op 0
		.amdhsa_exception_fp_denorm_src 0
		.amdhsa_exception_fp_ieee_div_zero 0
		.amdhsa_exception_fp_ieee_overflow 0
		.amdhsa_exception_fp_ieee_underflow 0
		.amdhsa_exception_fp_ieee_inexact 0
		.amdhsa_exception_int_div_zero 0
	.end_amdhsa_kernel
	.section	.text._Z16flag_sync_kernelILi3ELi0EEvP15transfer_data_tP16profiling_data_tm,"axG",@progbits,_Z16flag_sync_kernelILi3ELi0EEvP15transfer_data_tP16profiling_data_tm,comdat
.Lfunc_end7:
	.size	_Z16flag_sync_kernelILi3ELi0EEvP15transfer_data_tP16profiling_data_tm, .Lfunc_end7-_Z16flag_sync_kernelILi3ELi0EEvP15transfer_data_tP16profiling_data_tm
                                        ; -- End function
	.set _Z16flag_sync_kernelILi3ELi0EEvP15transfer_data_tP16profiling_data_tm.num_vgpr, 31
	.set _Z16flag_sync_kernelILi3ELi0EEvP15transfer_data_tP16profiling_data_tm.num_agpr, 0
	.set _Z16flag_sync_kernelILi3ELi0EEvP15transfer_data_tP16profiling_data_tm.numbered_sgpr, 28
	.set _Z16flag_sync_kernelILi3ELi0EEvP15transfer_data_tP16profiling_data_tm.num_named_barrier, 0
	.set _Z16flag_sync_kernelILi3ELi0EEvP15transfer_data_tP16profiling_data_tm.private_seg_size, 0
	.set _Z16flag_sync_kernelILi3ELi0EEvP15transfer_data_tP16profiling_data_tm.uses_vcc, 1
	.set _Z16flag_sync_kernelILi3ELi0EEvP15transfer_data_tP16profiling_data_tm.uses_flat_scratch, 0
	.set _Z16flag_sync_kernelILi3ELi0EEvP15transfer_data_tP16profiling_data_tm.has_dyn_sized_stack, 0
	.set _Z16flag_sync_kernelILi3ELi0EEvP15transfer_data_tP16profiling_data_tm.has_recursion, 0
	.set _Z16flag_sync_kernelILi3ELi0EEvP15transfer_data_tP16profiling_data_tm.has_indirect_call, 0
	.section	.AMDGPU.csdata,"",@progbits
; Kernel info:
; codeLenInByte = 1484
; TotalNumSgprs: 32
; NumVgprs: 31
; ScratchSize: 0
; MemoryBound: 0
; FloatMode: 240
; IeeeMode: 1
; LDSByteSize: 0 bytes/workgroup (compile time only)
; SGPRBlocks: 3
; VGPRBlocks: 7
; NumSGPRsForWavesPerEU: 32
; NumVGPRsForWavesPerEU: 31
; Occupancy: 8
; WaveLimiterHint : 1
; COMPUTE_PGM_RSRC2:SCRATCH_EN: 0
; COMPUTE_PGM_RSRC2:USER_SGPR: 6
; COMPUTE_PGM_RSRC2:TRAP_HANDLER: 0
; COMPUTE_PGM_RSRC2:TGID_X_EN: 1
; COMPUTE_PGM_RSRC2:TGID_Y_EN: 0
; COMPUTE_PGM_RSRC2:TGID_Z_EN: 0
; COMPUTE_PGM_RSRC2:TIDIG_COMP_CNT: 0
	.section	.text._Z16flag_sync_kernelILi3ELi1EEvP15transfer_data_tP16profiling_data_tm,"axG",@progbits,_Z16flag_sync_kernelILi3ELi1EEvP15transfer_data_tP16profiling_data_tm,comdat
	.protected	_Z16flag_sync_kernelILi3ELi1EEvP15transfer_data_tP16profiling_data_tm ; -- Begin function _Z16flag_sync_kernelILi3ELi1EEvP15transfer_data_tP16profiling_data_tm
	.globl	_Z16flag_sync_kernelILi3ELi1EEvP15transfer_data_tP16profiling_data_tm
	.p2align	8
	.type	_Z16flag_sync_kernelILi3ELi1EEvP15transfer_data_tP16profiling_data_tm,@function
_Z16flag_sync_kernelILi3ELi1EEvP15transfer_data_tP16profiling_data_tm: ; @_Z16flag_sync_kernelILi3ELi1EEvP15transfer_data_tP16profiling_data_tm
; %bb.0:
	s_mov_b64 s[26:27], s[2:3]
	s_mov_b64 s[24:25], s[0:1]
	s_load_dwordx4 s[8:11], s[4:5], 0x0
	s_load_dwordx2 s[2:3], s[4:5], 0x10
	s_add_u32 s24, s24, s7
	s_addc_u32 s25, s25, 0
	v_cmp_eq_u32_e64 s[0:1], 0, v0
	s_waitcnt lgkmcnt(0)
	s_load_dword s18, s[8:9], 0x8c0
	s_and_saveexec_b64 s[4:5], s[0:1]
	s_cbranch_execz .LBB8_10
; %bb.1:
	s_load_dword s12, s[8:9], 0x8c4
	s_load_dwordx2 s[16:17], s[8:9], 0x8d0
	s_mov_b64 s[14:15], src_private_base
	s_waitcnt lgkmcnt(0)
	s_ashr_i32 s13, s12, 31
	s_lshl_b64 s[12:13], s[12:13], 3
	s_add_u32 s12, s16, s12
	s_addc_u32 s13, s17, s13
	s_cmp_eq_u32 s13, s15
	s_cselect_b64 s[14:15], -1, 0
	s_andn2_b64 vcc, exec, s[14:15]
	s_mov_b64 s[14:15], -1
	s_cbranch_vccz .LBB8_3
; %bb.2:
	v_mov_b32_e32 v1, 1
	v_mov_b32_e32 v3, s12
	;; [unrolled: 1-line block ×4, first 2 shown]
	flat_atomic_add_x2 v[3:4], v[1:2]
	s_waitcnt vmcnt(0) lgkmcnt(0)
	buffer_wbinvl1_vol
	s_mov_b64 s[14:15], 0
.LBB8_3:
	s_andn2_b64 vcc, exec, s[14:15]
	s_cbranch_vccnz .LBB8_5
; %bb.4:
	s_cmp_lg_u64 s[12:13], 0
	s_cselect_b32 s7, s12, -1
	v_mov_b32_e32 v1, s7
	buffer_load_dword v2, v1, s[24:27], 0 offen
	buffer_load_dword v3, v1, s[24:27], 0 offen offset:4
	s_waitcnt vmcnt(1)
	v_add_co_u32_e32 v2, vcc, 1, v2
	s_waitcnt vmcnt(0)
	v_addc_co_u32_e32 v3, vcc, 0, v3, vcc
	buffer_store_dword v2, v1, s[24:27], 0 offen
	buffer_store_dword v3, v1, s[24:27], 0 offen offset:4
.LBB8_5:
	v_mov_b32_e32 v1, 0
	global_load_dword v2, v1, s[8:9] offset:2248
	s_waitcnt vmcnt(0)
	v_cmp_gt_i32_e32 vcc, 1, v2
	s_cbranch_vccnz .LBB8_10
; %bb.6:
	s_mov_b32 s13, 0
	s_mov_b32 s12, s13
.LBB8_7:                                ; =>This Loop Header: Depth=1
                                        ;     Child Loop BB8_8 Depth 2
	s_lshl_b64 s[16:17], s[12:13], 3
	s_mov_b64 s[14:15], 0
	v_mov_b32_e32 v2, s17
.LBB8_8:                                ;   Parent Loop BB8_7 Depth=1
                                        ; =>  This Inner Loop Header: Depth=2
	global_load_dwordx2 v[3:4], v1, s[8:9] offset:2256
	s_waitcnt vmcnt(0)
	v_add_co_u32_e32 v3, vcc, s16, v3
	v_addc_co_u32_e32 v4, vcc, v4, v2, vcc
	flat_load_dwordx2 v[3:4], v[3:4] glc
	s_waitcnt vmcnt(0) lgkmcnt(0)
	buffer_wbinvl1_vol
	v_cmp_le_u64_e32 vcc, s[2:3], v[3:4]
	s_or_b64 s[14:15], vcc, s[14:15]
	s_andn2_b64 exec, exec, s[14:15]
	s_cbranch_execnz .LBB8_8
; %bb.9:                                ;   in Loop: Header=BB8_7 Depth=1
	s_or_b64 exec, exec, s[14:15]
	global_load_dword v2, v1, s[8:9] offset:2248
	s_add_i32 s12, s12, 1
	s_waitcnt vmcnt(0)
	v_cmp_lt_i32_e32 vcc, s12, v2
	s_cbranch_vccnz .LBB8_7
.LBB8_10:
	s_or_b64 exec, exec, s[4:5]
	s_waitcnt lgkmcnt(0)
	s_barrier
                                        ; implicit-def: $sgpr12_sgpr13
	s_and_saveexec_b64 s[2:3], s[0:1]
; %bb.11:
	s_memrealtime s[12:13]
; %bb.12:
	s_or_b64 exec, exec, s[2:3]
	s_ashr_i32 s7, s6, 31
	s_cmp_lt_i32 s18, 1
	s_cbranch_scc1 .LBB8_34
; %bb.13:
	s_lshl_b64 s[2:3], s[6:7], 3
	s_add_u32 s2, s8, s2
	s_addc_u32 s3, s9, s3
	v_mov_b32_e32 v7, 0
	global_load_dwordx2 v[5:6], v7, s[2:3] offset:448
	global_load_dwordx2 v[3:4], v7, s[2:3] offset:896
	;; [unrolled: 1-line block ×3, first 2 shown]
	v_lshrrev_b32_e32 v8, 6, v0
	v_and_b32_e32 v9, 63, v0
	s_mov_b32 s2, 0
	s_waitcnt vmcnt(1)
	v_or_b32_e32 v7, v3, v5
	s_waitcnt vmcnt(0)
	v_or_b32_e32 v7, v7, v1
	v_and_b32_e32 v7, 3, v7
	v_cmp_eq_u32_e32 vcc, 0, v7
	v_lshl_or_b32 v7, v8, 8, v9
	s_cbranch_vccnz .LBB8_24
; %bb.14:
	v_lshl_or_b32 v8, v8, 8, v9
	s_mov_b64 s[8:9], -1
	s_cbranch_execnz .LBB8_25
.LBB8_15:
	s_lshr_b32 s2, s18, 2
	s_and_b32 s19, s2, 0x1fffff00
	v_cmp_gt_u32_e32 vcc, s19, v7
	s_and_saveexec_b64 s[14:15], vcc
	s_cbranch_execz .LBB8_18
; %bb.16:
	v_lshlrev_b32_e32 v12, 4, v7
	v_add_co_u32_e32 v8, vcc, v5, v12
	v_addc_co_u32_e32 v9, vcc, 0, v6, vcc
	v_add_co_u32_e32 v10, vcc, v1, v12
	v_addc_co_u32_e32 v11, vcc, 0, v2, vcc
	;; [unrolled: 2-line block ×3, first 2 shown]
	s_mov_b64 s[16:17], 0
	s_movk_i32 s20, 0x4000
	v_mov_b32_e32 v14, v7
.LBB8_17:                               ; =>This Inner Loop Header: Depth=1
	flat_load_dwordx4 v[15:18], v[8:9] glc slc
	flat_load_dwordx4 v[19:22], v[8:9] offset:1024 glc slc
	flat_load_dwordx4 v[23:26], v[8:9] offset:2048 glc slc
	;; [unrolled: 1-line block ×3, first 2 shown]
	v_add_u32_e32 v14, 0x400, v14
	v_cmp_le_u32_e32 vcc, s19, v14
	s_or_b64 s[16:17], vcc, s[16:17]
	s_waitcnt vmcnt(0) lgkmcnt(0)
	flat_store_dwordx4 v[12:13], v[15:18] glc slc
	flat_store_dwordx4 v[12:13], v[19:22] offset:1024 glc slc
	flat_store_dwordx4 v[12:13], v[23:26] offset:2048 glc slc
	;; [unrolled: 1-line block ×3, first 2 shown]
	flat_store_dwordx4 v[10:11], v[15:18] glc slc
	flat_store_dwordx4 v[10:11], v[19:22] offset:1024 glc slc
	flat_store_dwordx4 v[10:11], v[23:26] offset:2048 glc slc
	;; [unrolled: 1-line block ×3, first 2 shown]
	v_add_co_u32_e32 v12, vcc, s20, v12
	s_mov_b64 s[2:3], vcc
	v_add_co_u32_e32 v10, vcc, 0x4000, v10
	s_mov_b64 s[4:5], vcc
	v_addc_co_u32_e64 v13, vcc, 0, v13, s[2:3]
	v_add_co_u32_e32 v8, vcc, 0x4000, v8
	v_addc_co_u32_e64 v11, s[2:3], 0, v11, s[4:5]
	v_addc_co_u32_e32 v9, vcc, 0, v9, vcc
	s_andn2_b64 exec, exec, s[16:17]
	s_cbranch_execnz .LBB8_17
.LBB8_18:
	s_or_b64 exec, exec, s[14:15]
	s_lshl_b32 s2, s19, 2
	s_cmp_eq_u32 s18, s2
	s_cbranch_scc1 .LBB8_26
; %bb.19:
	s_sub_i32 s16, s18, s2
	s_ashr_i32 s17, s16, 2
	v_cmp_gt_i32_e32 vcc, s17, v0
	s_and_saveexec_b64 s[4:5], vcc
	s_cbranch_execz .LBB8_22
; %bb.20:
	s_mov_b32 s3, 0
	s_lshl_b64 s[14:15], s[2:3], 2
	v_mov_b32_e32 v12, s15
	v_add_co_u32_e32 v8, vcc, s14, v5
	v_addc_co_u32_e32 v9, vcc, v6, v12, vcc
	v_lshlrev_b32_e32 v13, 4, v0
	v_add_co_u32_e32 v8, vcc, v8, v13
	v_addc_co_u32_e32 v9, vcc, 0, v9, vcc
	v_add_co_u32_e32 v10, vcc, s14, v3
	v_addc_co_u32_e32 v11, vcc, v4, v12, vcc
	;; [unrolled: 2-line block ×5, first 2 shown]
	s_mov_b64 s[14:15], 0
	v_mov_b32_e32 v14, v0
.LBB8_21:                               ; =>This Inner Loop Header: Depth=1
	flat_load_dwordx4 v[15:18], v[8:9] glc slc
	v_add_u32_e32 v14, 0x100, v14
	v_cmp_le_i32_e32 vcc, s17, v14
	s_or_b64 s[14:15], vcc, s[14:15]
	s_waitcnt vmcnt(0) lgkmcnt(0)
	flat_store_dwordx4 v[10:11], v[15:18]
	flat_store_dwordx4 v[12:13], v[15:18]
	v_add_co_u32_e32 v10, vcc, 0x1000, v10
	v_addc_co_u32_e32 v11, vcc, 0, v11, vcc
	v_add_co_u32_e32 v12, vcc, 0x1000, v12
	v_addc_co_u32_e32 v13, vcc, 0, v13, vcc
	;; [unrolled: 2-line block ×3, first 2 shown]
	s_andn2_b64 exec, exec, s[14:15]
	s_cbranch_execnz .LBB8_21
.LBB8_22:
	s_or_b64 exec, exec, s[4:5]
	s_and_b32 s14, s18, 3
	s_cmp_eq_u32 s14, 0
	s_cbranch_scc1 .LBB8_27
; %bb.23:
	s_and_b32 s3, s16, -4
	s_add_i32 s2, s3, s2
	s_cbranch_execnz .LBB8_28
	s_branch .LBB8_34
.LBB8_24:
	s_mov_b64 s[8:9], 0
                                        ; implicit-def: $vgpr8
	s_branch .LBB8_15
.LBB8_25:
	s_mov_b32 s14, s18
	v_mov_b32_e32 v7, v8
	s_and_b64 vcc, exec, s[8:9]
	s_cbranch_vccnz .LBB8_28
	s_branch .LBB8_34
.LBB8_26:
                                        ; implicit-def: $sgpr14
.LBB8_27:
                                        ; implicit-def: $sgpr2
	s_and_b64 vcc, exec, s[8:9]
	s_cbranch_vccz .LBB8_34
.LBB8_28:
	s_and_b32 s15, s14, 0x7fffff00
	v_cmp_gt_u32_e32 vcc, s15, v7
	s_and_saveexec_b64 s[4:5], vcc
	s_cbranch_execz .LBB8_31
; %bb.29:
	s_ashr_i32 s3, s2, 31
	s_lshl_b64 s[8:9], s[2:3], 2
	v_mov_b32_e32 v8, 0
	v_mov_b32_e32 v14, s9
	v_add_co_u32_e32 v9, vcc, s8, v5
	v_lshlrev_b64 v[12:13], 2, v[7:8]
	v_addc_co_u32_e32 v10, vcc, v6, v14, vcc
	v_add_co_u32_e32 v8, vcc, v9, v12
	v_addc_co_u32_e32 v9, vcc, v10, v13, vcc
	v_add_co_u32_e32 v10, vcc, s8, v3
	;; [unrolled: 2-line block ×5, first 2 shown]
	v_addc_co_u32_e32 v13, vcc, v14, v13, vcc
	s_mov_b64 s[8:9], 0
	s_movk_i32 s3, 0x1000
.LBB8_30:                               ; =>This Inner Loop Header: Depth=1
	flat_load_dword v14, v[8:9] glc slc
	flat_load_dword v15, v[8:9] offset:256 glc slc
	flat_load_dword v16, v[8:9] offset:512 glc slc
	;; [unrolled: 1-line block ×3, first 2 shown]
	v_add_u32_e32 v7, 0x400, v7
	v_cmp_le_u32_e32 vcc, s15, v7
	s_or_b64 s[8:9], vcc, s[8:9]
	s_waitcnt vmcnt(0) lgkmcnt(0)
	flat_store_dword v[10:11], v14 glc slc
	flat_store_dword v[10:11], v15 offset:256 glc slc
	flat_store_dword v[10:11], v16 offset:512 glc slc
	;; [unrolled: 1-line block ×3, first 2 shown]
	flat_store_dword v[12:13], v14 glc slc
	flat_store_dword v[12:13], v15 offset:256 glc slc
	flat_store_dword v[12:13], v16 offset:512 glc slc
	;; [unrolled: 1-line block ×3, first 2 shown]
	v_add_co_u32_e32 v10, vcc, s3, v10
	v_addc_co_u32_e32 v11, vcc, 0, v11, vcc
	v_add_co_u32_e32 v12, vcc, 0x1000, v12
	v_addc_co_u32_e32 v13, vcc, 0, v13, vcc
	;; [unrolled: 2-line block ×3, first 2 shown]
	s_andn2_b64 exec, exec, s[8:9]
	s_cbranch_execnz .LBB8_30
.LBB8_31:
	s_or_b64 exec, exec, s[4:5]
	s_and_b32 s3, s14, 0xff
	s_cmp_lg_u32 s3, 0
	s_cselect_b64 s[4:5], -1, 0
	v_cmp_gt_u32_e32 vcc, s3, v0
	s_and_b64 s[8:9], s[4:5], vcc
	s_and_saveexec_b64 s[4:5], s[8:9]
	s_cbranch_execz .LBB8_33
; %bb.32:
	s_add_i32 s2, s15, s2
	s_ashr_i32 s3, s2, 31
	s_lshl_b64 s[2:3], s[2:3], 2
	v_mov_b32_e32 v7, s3
	v_add_co_u32_e32 v5, vcc, s2, v5
	v_addc_co_u32_e32 v6, vcc, v6, v7, vcc
	v_lshlrev_b32_e32 v8, 2, v0
	v_add_co_u32_e32 v5, vcc, v5, v8
	v_addc_co_u32_e32 v6, vcc, 0, v6, vcc
	flat_load_dword v5, v[5:6] glc slc
	v_add_co_u32_e32 v0, vcc, s2, v3
	v_addc_co_u32_e32 v3, vcc, v4, v7, vcc
	v_add_co_u32_e32 v4, vcc, s2, v1
	v_addc_co_u32_e32 v6, vcc, v2, v7, vcc
	v_add_co_u32_e32 v0, vcc, v0, v8
	v_addc_co_u32_e32 v1, vcc, 0, v3, vcc
	v_add_co_u32_e32 v2, vcc, v4, v8
	v_addc_co_u32_e32 v3, vcc, 0, v6, vcc
	s_waitcnt vmcnt(0) lgkmcnt(0)
	flat_store_dword v[0:1], v5 glc slc
	flat_store_dword v[2:3], v5 glc slc
.LBB8_33:
	s_or_b64 exec, exec, s[4:5]
.LBB8_34:
	s_waitcnt vmcnt(0) lgkmcnt(0)
	s_barrier
	s_and_saveexec_b64 s[2:3], s[0:1]
	s_cbranch_execz .LBB8_39
; %bb.35:
	s_lshl_b64 s[0:1], s[6:7], 3
	s_memrealtime s[6:7]
	s_mov_b64 s[4:5], exec
	v_mbcnt_lo_u32_b32 v0, s4, 0
	s_add_u32 s0, s10, s0
	v_mbcnt_hi_u32_b32 v0, s5, v0
	s_addc_u32 s1, s11, s1
	v_cmp_eq_u32_e32 vcc, 0, v0
	s_and_saveexec_b64 s[2:3], vcc
	s_cbranch_execz .LBB8_37
; %bb.36:
	s_waitcnt lgkmcnt(0)
	s_sub_u32 s6, s6, s12
	s_subb_u32 s7, s7, s13
	s_bcnt1_i32_b64 s4, s[4:5]
	s_mul_i32 s7, s7, s4
	s_mul_hi_u32 s5, s6, s4
	s_add_i32 s5, s5, s7
	s_mul_i32 s6, s6, s4
	v_mov_b32_e32 v0, s6
	v_mov_b32_e32 v1, s5
	;; [unrolled: 1-line block ×3, first 2 shown]
	global_atomic_add_x2 v2, v[0:1], s[0:1]
	s_waitcnt vmcnt(0)
	buffer_wbinvl1_vol
.LBB8_37:
	s_or_b64 exec, exec, s[2:3]
	s_mov_b64 s[2:3], exec
	v_mbcnt_lo_u32_b32 v0, s2, 0
	v_mbcnt_hi_u32_b32 v0, s3, v0
	v_cmp_eq_u32_e32 vcc, 0, v0
	s_and_b64 s[4:5], exec, vcc
	s_mov_b64 exec, s[4:5]
	s_cbranch_execz .LBB8_39
; %bb.38:
	s_bcnt1_i32_b64 s2, s[2:3]
	s_mul_hi_i32 s3, s18, s2
	s_mul_i32 s2, s18, s2
	s_lshl_b64 s[2:3], s[2:3], 2
	v_mov_b32_e32 v0, s2
	v_mov_b32_e32 v2, 0
	;; [unrolled: 1-line block ×3, first 2 shown]
	s_waitcnt lgkmcnt(0)
	global_atomic_add_x2 v2, v[0:1], s[0:1] offset:448
	s_waitcnt vmcnt(0)
	buffer_wbinvl1_vol
.LBB8_39:
	s_endpgm
	.section	.rodata,"a",@progbits
	.p2align	6, 0x0
	.amdhsa_kernel _Z16flag_sync_kernelILi3ELi1EEvP15transfer_data_tP16profiling_data_tm
		.amdhsa_group_segment_fixed_size 0
		.amdhsa_private_segment_fixed_size 0
		.amdhsa_kernarg_size 24
		.amdhsa_user_sgpr_count 6
		.amdhsa_user_sgpr_private_segment_buffer 1
		.amdhsa_user_sgpr_dispatch_ptr 0
		.amdhsa_user_sgpr_queue_ptr 0
		.amdhsa_user_sgpr_kernarg_segment_ptr 1
		.amdhsa_user_sgpr_dispatch_id 0
		.amdhsa_user_sgpr_flat_scratch_init 0
		.amdhsa_user_sgpr_private_segment_size 0
		.amdhsa_uses_dynamic_stack 0
		.amdhsa_system_sgpr_private_segment_wavefront_offset 0
		.amdhsa_system_sgpr_workgroup_id_x 1
		.amdhsa_system_sgpr_workgroup_id_y 0
		.amdhsa_system_sgpr_workgroup_id_z 0
		.amdhsa_system_sgpr_workgroup_info 0
		.amdhsa_system_vgpr_workitem_id 0
		.amdhsa_next_free_vgpr 31
		.amdhsa_next_free_sgpr 28
		.amdhsa_reserve_vcc 1
		.amdhsa_reserve_flat_scratch 0
		.amdhsa_float_round_mode_32 0
		.amdhsa_float_round_mode_16_64 0
		.amdhsa_float_denorm_mode_32 3
		.amdhsa_float_denorm_mode_16_64 3
		.amdhsa_dx10_clamp 1
		.amdhsa_ieee_mode 1
		.amdhsa_fp16_overflow 0
		.amdhsa_exception_fp_ieee_invalid_op 0
		.amdhsa_exception_fp_denorm_src 0
		.amdhsa_exception_fp_ieee_div_zero 0
		.amdhsa_exception_fp_ieee_overflow 0
		.amdhsa_exception_fp_ieee_underflow 0
		.amdhsa_exception_fp_ieee_inexact 0
		.amdhsa_exception_int_div_zero 0
	.end_amdhsa_kernel
	.section	.text._Z16flag_sync_kernelILi3ELi1EEvP15transfer_data_tP16profiling_data_tm,"axG",@progbits,_Z16flag_sync_kernelILi3ELi1EEvP15transfer_data_tP16profiling_data_tm,comdat
.Lfunc_end8:
	.size	_Z16flag_sync_kernelILi3ELi1EEvP15transfer_data_tP16profiling_data_tm, .Lfunc_end8-_Z16flag_sync_kernelILi3ELi1EEvP15transfer_data_tP16profiling_data_tm
                                        ; -- End function
	.set _Z16flag_sync_kernelILi3ELi1EEvP15transfer_data_tP16profiling_data_tm.num_vgpr, 31
	.set _Z16flag_sync_kernelILi3ELi1EEvP15transfer_data_tP16profiling_data_tm.num_agpr, 0
	.set _Z16flag_sync_kernelILi3ELi1EEvP15transfer_data_tP16profiling_data_tm.numbered_sgpr, 28
	.set _Z16flag_sync_kernelILi3ELi1EEvP15transfer_data_tP16profiling_data_tm.num_named_barrier, 0
	.set _Z16flag_sync_kernelILi3ELi1EEvP15transfer_data_tP16profiling_data_tm.private_seg_size, 0
	.set _Z16flag_sync_kernelILi3ELi1EEvP15transfer_data_tP16profiling_data_tm.uses_vcc, 1
	.set _Z16flag_sync_kernelILi3ELi1EEvP15transfer_data_tP16profiling_data_tm.uses_flat_scratch, 0
	.set _Z16flag_sync_kernelILi3ELi1EEvP15transfer_data_tP16profiling_data_tm.has_dyn_sized_stack, 0
	.set _Z16flag_sync_kernelILi3ELi1EEvP15transfer_data_tP16profiling_data_tm.has_recursion, 0
	.set _Z16flag_sync_kernelILi3ELi1EEvP15transfer_data_tP16profiling_data_tm.has_indirect_call, 0
	.section	.AMDGPU.csdata,"",@progbits
; Kernel info:
; codeLenInByte = 1620
; TotalNumSgprs: 32
; NumVgprs: 31
; ScratchSize: 0
; MemoryBound: 0
; FloatMode: 240
; IeeeMode: 1
; LDSByteSize: 0 bytes/workgroup (compile time only)
; SGPRBlocks: 3
; VGPRBlocks: 7
; NumSGPRsForWavesPerEU: 32
; NumVGPRsForWavesPerEU: 31
; Occupancy: 8
; WaveLimiterHint : 1
; COMPUTE_PGM_RSRC2:SCRATCH_EN: 0
; COMPUTE_PGM_RSRC2:USER_SGPR: 6
; COMPUTE_PGM_RSRC2:TRAP_HANDLER: 0
; COMPUTE_PGM_RSRC2:TGID_X_EN: 1
; COMPUTE_PGM_RSRC2:TGID_Y_EN: 0
; COMPUTE_PGM_RSRC2:TGID_Z_EN: 0
; COMPUTE_PGM_RSRC2:TIDIG_COMP_CNT: 0
	.section	.text._Z16flag_sync_kernelILi4ELi0EEvP15transfer_data_tP16profiling_data_tm,"axG",@progbits,_Z16flag_sync_kernelILi4ELi0EEvP15transfer_data_tP16profiling_data_tm,comdat
	.protected	_Z16flag_sync_kernelILi4ELi0EEvP15transfer_data_tP16profiling_data_tm ; -- Begin function _Z16flag_sync_kernelILi4ELi0EEvP15transfer_data_tP16profiling_data_tm
	.globl	_Z16flag_sync_kernelILi4ELi0EEvP15transfer_data_tP16profiling_data_tm
	.p2align	8
	.type	_Z16flag_sync_kernelILi4ELi0EEvP15transfer_data_tP16profiling_data_tm,@function
_Z16flag_sync_kernelILi4ELi0EEvP15transfer_data_tP16profiling_data_tm: ; @_Z16flag_sync_kernelILi4ELi0EEvP15transfer_data_tP16profiling_data_tm
; %bb.0:
	s_load_dwordx4 s[8:11], s[4:5], 0x0
	s_mov_b64 s[26:27], s[2:3]
	s_mov_b64 s[24:25], s[0:1]
	s_add_u32 s24, s24, s7
	s_addc_u32 s25, s25, 0
	s_waitcnt lgkmcnt(0)
	s_load_dword s18, s[8:9], 0x8c0
	v_cmp_eq_u32_e64 s[0:1], 0, v0
	s_and_saveexec_b64 s[2:3], s[0:1]
	s_cbranch_execz .LBB9_5
; %bb.1:
	s_load_dword s4, s[8:9], 0x8c4
	s_load_dwordx2 s[14:15], s[8:9], 0x8d0
	s_mov_b64 s[12:13], src_private_base
	s_waitcnt lgkmcnt(0)
	s_ashr_i32 s5, s4, 31
	s_lshl_b64 s[4:5], s[4:5], 3
	s_add_u32 s4, s14, s4
	s_addc_u32 s5, s15, s5
	s_cmp_eq_u32 s5, s13
	s_cselect_b64 s[12:13], -1, 0
	s_andn2_b64 vcc, exec, s[12:13]
	s_mov_b64 s[12:13], -1
	s_cbranch_vccz .LBB9_3
; %bb.2:
	v_mov_b32_e32 v1, 1
	v_mov_b32_e32 v3, s4
	;; [unrolled: 1-line block ×4, first 2 shown]
	flat_atomic_add_x2 v[3:4], v[1:2]
	s_waitcnt vmcnt(0) lgkmcnt(0)
	buffer_wbinvl1_vol
	s_mov_b64 s[12:13], 0
.LBB9_3:
	s_andn2_b64 vcc, exec, s[12:13]
	s_cbranch_vccnz .LBB9_5
; %bb.4:
	s_cmp_lg_u64 s[4:5], 0
	s_cselect_b32 s4, s4, -1
	v_mov_b32_e32 v1, s4
	buffer_load_dword v2, v1, s[24:27], 0 offen
	buffer_load_dword v3, v1, s[24:27], 0 offen offset:4
	s_waitcnt vmcnt(1)
	v_add_co_u32_e32 v2, vcc, 1, v2
	s_waitcnt vmcnt(0)
	v_addc_co_u32_e32 v3, vcc, 0, v3, vcc
	buffer_store_dword v2, v1, s[24:27], 0 offen
	buffer_store_dword v3, v1, s[24:27], 0 offen offset:4
.LBB9_5:
	s_or_b64 exec, exec, s[2:3]
	s_waitcnt vmcnt(0) lgkmcnt(0)
	s_barrier
                                        ; implicit-def: $sgpr12_sgpr13
	s_and_saveexec_b64 s[2:3], s[0:1]
; %bb.6:
	s_memrealtime s[12:13]
; %bb.7:
	s_or_b64 exec, exec, s[2:3]
	s_ashr_i32 s7, s6, 31
	s_cmp_lt_i32 s18, 1
	s_cbranch_scc1 .LBB9_29
; %bb.8:
	s_lshl_b64 s[2:3], s[6:7], 3
	s_add_u32 s2, s8, s2
	s_addc_u32 s3, s9, s3
	v_mov_b32_e32 v7, 0
	global_load_dwordx2 v[5:6], v7, s[2:3] offset:448
	global_load_dwordx2 v[3:4], v7, s[2:3] offset:1792
	global_load_dwordx2 v[1:2], v7, s[2:3]
	v_lshrrev_b32_e32 v8, 6, v0
	v_and_b32_e32 v9, 63, v0
	s_mov_b32 s4, 0
	s_waitcnt vmcnt(1)
	v_or_b32_e32 v7, v3, v5
	s_waitcnt vmcnt(0)
	v_or_b32_e32 v7, v7, v1
	v_and_b32_e32 v7, 3, v7
	v_cmp_eq_u32_e32 vcc, 0, v7
	v_lshl_or_b32 v7, v8, 8, v9
	s_cbranch_vccnz .LBB9_19
; %bb.9:
	v_lshl_or_b32 v8, v8, 8, v9
	s_mov_b64 s[8:9], -1
	s_cbranch_execnz .LBB9_20
.LBB9_10:
	s_lshr_b32 s2, s18, 2
	s_and_b32 s19, s2, 0x1fffff00
	v_cmp_gt_u32_e32 vcc, s19, v7
	s_and_saveexec_b64 s[14:15], vcc
	s_cbranch_execz .LBB9_13
; %bb.11:
	v_lshlrev_b32_e32 v12, 4, v7
	v_add_co_u32_e32 v8, vcc, v3, v12
	v_addc_co_u32_e32 v9, vcc, 0, v4, vcc
	v_add_co_u32_e32 v10, vcc, v5, v12
	v_addc_co_u32_e32 v11, vcc, 0, v6, vcc
	;; [unrolled: 2-line block ×3, first 2 shown]
	s_mov_b64 s[16:17], 0
	s_movk_i32 s20, 0x4000
	v_mov_b32_e32 v14, v7
.LBB9_12:                               ; =>This Inner Loop Header: Depth=1
	flat_load_dwordx4 v[15:18], v[8:9] glc slc
	flat_load_dwordx4 v[19:22], v[10:11] glc slc
	flat_load_dwordx4 v[23:26], v[10:11] offset:1024 glc slc
	flat_load_dwordx4 v[27:30], v[8:9] offset:1024 glc slc
	;; [unrolled: 1-line block ×3, first 2 shown]
	v_add_u32_e32 v14, 0x400, v14
	v_cmp_le_u32_e64 s[4:5], s19, v14
	s_or_b64 s[16:17], s[4:5], s[16:17]
	s_waitcnt vmcnt(0) lgkmcnt(0)
	v_add_f32_e32 v15, v19, v15
	v_add_f32_e32 v16, v20, v16
	;; [unrolled: 1-line block ×4, first 2 shown]
	flat_load_dwordx4 v[19:22], v[10:11] offset:2048 glc slc
	v_add_f32_e32 v23, v23, v27
	v_add_f32_e32 v24, v24, v28
	;; [unrolled: 1-line block ×4, first 2 shown]
	flat_load_dwordx4 v[27:30], v[10:11] offset:3072 glc slc
	flat_load_dwordx4 v[35:38], v[8:9] offset:3072 glc slc
	v_add_co_u32_e32 v10, vcc, s20, v10
	s_mov_b64 s[2:3], vcc
	v_add_co_u32_e32 v8, vcc, 0x4000, v8
	v_addc_co_u32_e32 v9, vcc, 0, v9, vcc
	v_addc_co_u32_e64 v11, s[2:3], 0, v11, s[2:3]
	s_waitcnt vmcnt(0) lgkmcnt(0)
	v_add_f32_e32 v19, v19, v31
	v_add_f32_e32 v20, v20, v32
	;; [unrolled: 1-line block ×8, first 2 shown]
	flat_store_dwordx4 v[12:13], v[15:18] glc slc
	flat_store_dwordx4 v[12:13], v[23:26] offset:1024 glc slc
	flat_store_dwordx4 v[12:13], v[19:22] offset:2048 glc slc
	;; [unrolled: 1-line block ×3, first 2 shown]
	v_add_co_u32_e32 v12, vcc, 0x4000, v12
	v_addc_co_u32_e32 v13, vcc, 0, v13, vcc
	s_andn2_b64 exec, exec, s[16:17]
	s_cbranch_execnz .LBB9_12
.LBB9_13:
	s_or_b64 exec, exec, s[14:15]
	s_lshl_b32 s4, s19, 2
	s_cmp_eq_u32 s18, s4
	s_cbranch_scc1 .LBB9_21
; %bb.14:
	s_sub_i32 s19, s18, s4
	s_ashr_i32 s20, s19, 2
	v_cmp_gt_i32_e32 vcc, s20, v0
	s_and_saveexec_b64 s[14:15], vcc
	s_cbranch_execz .LBB9_17
; %bb.15:
	s_mov_b32 s5, 0
	s_lshl_b64 s[2:3], s[4:5], 2
	v_mov_b32_e32 v12, s3
	v_add_co_u32_e32 v8, vcc, s2, v1
	v_addc_co_u32_e32 v9, vcc, v2, v12, vcc
	v_lshlrev_b32_e32 v13, 4, v0
	v_add_co_u32_e32 v8, vcc, v8, v13
	v_addc_co_u32_e32 v9, vcc, 0, v9, vcc
	v_add_co_u32_e32 v10, vcc, s2, v5
	v_addc_co_u32_e32 v11, vcc, v6, v12, vcc
	;; [unrolled: 2-line block ×5, first 2 shown]
	s_mov_b64 s[16:17], 0
	s_movk_i32 s5, 0x1000
	v_mov_b32_e32 v14, v0
.LBB9_16:                               ; =>This Inner Loop Header: Depth=1
	flat_load_dwordx4 v[15:18], v[10:11] glc slc
	flat_load_dwordx4 v[19:22], v[12:13] glc slc
	v_add_co_u32_e32 v10, vcc, s5, v10
	v_addc_co_u32_e32 v11, vcc, 0, v11, vcc
	v_add_co_u32_e32 v12, vcc, 0x1000, v12
	v_add_u32_e32 v14, 0x100, v14
	v_addc_co_u32_e32 v13, vcc, 0, v13, vcc
	v_cmp_le_i32_e64 s[2:3], s20, v14
	s_or_b64 s[16:17], s[2:3], s[16:17]
	s_waitcnt vmcnt(0) lgkmcnt(0)
	v_add_f32_e32 v15, v15, v19
	v_add_f32_e32 v16, v16, v20
	;; [unrolled: 1-line block ×4, first 2 shown]
	flat_store_dwordx4 v[8:9], v[15:18]
	v_add_co_u32_e32 v8, vcc, 0x1000, v8
	v_addc_co_u32_e32 v9, vcc, 0, v9, vcc
	s_andn2_b64 exec, exec, s[16:17]
	s_cbranch_execnz .LBB9_16
.LBB9_17:
	s_or_b64 exec, exec, s[14:15]
	s_and_b32 s16, s18, 3
	s_cmp_eq_u32 s16, 0
	s_cbranch_scc1 .LBB9_22
; %bb.18:
	s_and_b32 s2, s19, -4
	s_add_i32 s4, s2, s4
	s_cbranch_execnz .LBB9_23
	s_branch .LBB9_29
.LBB9_19:
	s_mov_b64 s[8:9], 0
                                        ; implicit-def: $vgpr8
	s_branch .LBB9_10
.LBB9_20:
	s_mov_b32 s16, s18
	v_mov_b32_e32 v7, v8
	s_and_b64 vcc, exec, s[8:9]
	s_cbranch_vccnz .LBB9_23
	s_branch .LBB9_29
.LBB9_21:
                                        ; implicit-def: $sgpr16
.LBB9_22:
                                        ; implicit-def: $sgpr4
	s_and_b64 vcc, exec, s[8:9]
	s_cbranch_vccz .LBB9_29
.LBB9_23:
	s_and_b32 s17, s16, 0x7fffff00
	v_cmp_gt_u32_e32 vcc, s17, v7
	s_and_saveexec_b64 s[8:9], vcc
	s_cbranch_execz .LBB9_26
; %bb.24:
	s_ashr_i32 s5, s4, 31
	s_lshl_b64 s[2:3], s[4:5], 2
	v_mov_b32_e32 v8, 0
	v_mov_b32_e32 v14, s3
	v_add_co_u32_e32 v9, vcc, s2, v1
	v_lshlrev_b64 v[12:13], 2, v[7:8]
	v_addc_co_u32_e32 v10, vcc, v2, v14, vcc
	v_add_co_u32_e32 v8, vcc, v9, v12
	v_addc_co_u32_e32 v9, vcc, v10, v13, vcc
	v_add_co_u32_e32 v10, vcc, s2, v5
	;; [unrolled: 2-line block ×5, first 2 shown]
	v_addc_co_u32_e32 v13, vcc, v14, v13, vcc
	s_mov_b64 s[14:15], 0
	s_movk_i32 s5, 0x1000
.LBB9_25:                               ; =>This Inner Loop Header: Depth=1
	flat_load_dword v14, v[10:11] glc slc
	flat_load_dword v15, v[10:11] offset:256 glc slc
	flat_load_dword v16, v[10:11] offset:512 glc slc
	;; [unrolled: 1-line block ×3, first 2 shown]
	flat_load_dword v18, v[12:13] glc slc
	flat_load_dword v19, v[12:13] offset:256 glc slc
	flat_load_dword v20, v[12:13] offset:512 glc slc
	;; [unrolled: 1-line block ×3, first 2 shown]
	v_add_co_u32_e32 v10, vcc, s5, v10
	v_addc_co_u32_e32 v11, vcc, 0, v11, vcc
	v_add_co_u32_e32 v12, vcc, 0x1000, v12
	v_add_u32_e32 v7, 0x400, v7
	v_addc_co_u32_e32 v13, vcc, 0, v13, vcc
	v_cmp_le_u32_e64 s[2:3], s17, v7
	s_or_b64 s[14:15], s[2:3], s[14:15]
	s_waitcnt vmcnt(0) lgkmcnt(0)
	v_add_f32_e32 v14, v14, v18
	v_add_f32_e32 v15, v15, v19
	;; [unrolled: 1-line block ×4, first 2 shown]
	flat_store_dword v[8:9], v14 glc slc
	flat_store_dword v[8:9], v15 offset:256 glc slc
	flat_store_dword v[8:9], v16 offset:512 glc slc
	;; [unrolled: 1-line block ×3, first 2 shown]
	v_add_co_u32_e32 v8, vcc, 0x1000, v8
	v_addc_co_u32_e32 v9, vcc, 0, v9, vcc
	s_andn2_b64 exec, exec, s[14:15]
	s_cbranch_execnz .LBB9_25
.LBB9_26:
	s_or_b64 exec, exec, s[8:9]
	s_and_b32 s5, s16, 0xff
	s_cmp_lg_u32 s5, 0
	s_cselect_b64 s[2:3], -1, 0
	v_cmp_gt_u32_e32 vcc, s5, v0
	s_and_b64 s[8:9], s[2:3], vcc
	s_and_saveexec_b64 s[2:3], s[8:9]
	s_cbranch_execz .LBB9_28
; %bb.27:
	s_add_i32 s4, s17, s4
	s_ashr_i32 s5, s4, 31
	s_lshl_b64 s[4:5], s[4:5], 2
	v_mov_b32_e32 v7, s5
	v_add_co_u32_e32 v5, vcc, s4, v5
	v_lshlrev_b32_e32 v0, 2, v0
	v_addc_co_u32_e32 v6, vcc, v6, v7, vcc
	v_add_co_u32_e32 v5, vcc, v5, v0
	v_addc_co_u32_e32 v6, vcc, 0, v6, vcc
	v_add_co_u32_e32 v3, vcc, s4, v3
	v_addc_co_u32_e32 v4, vcc, v4, v7, vcc
	v_add_co_u32_e32 v3, vcc, v3, v0
	v_addc_co_u32_e32 v4, vcc, 0, v4, vcc
	flat_load_dword v8, v[5:6] glc slc
	flat_load_dword v9, v[3:4] glc slc
	v_add_co_u32_e32 v1, vcc, s4, v1
	v_addc_co_u32_e32 v2, vcc, v2, v7, vcc
	v_add_co_u32_e32 v0, vcc, v1, v0
	v_addc_co_u32_e32 v1, vcc, 0, v2, vcc
	s_waitcnt vmcnt(0) lgkmcnt(0)
	v_add_f32_e32 v2, v8, v9
	flat_store_dword v[0:1], v2 glc slc
.LBB9_28:
	s_or_b64 exec, exec, s[2:3]
.LBB9_29:
	s_waitcnt vmcnt(0) lgkmcnt(0)
	s_barrier
	s_and_saveexec_b64 s[2:3], s[0:1]
	s_cbranch_execz .LBB9_34
; %bb.30:
	s_lshl_b64 s[0:1], s[6:7], 3
	s_memrealtime s[6:7]
	s_mov_b64 s[4:5], exec
	v_mbcnt_lo_u32_b32 v0, s4, 0
	s_add_u32 s0, s10, s0
	v_mbcnt_hi_u32_b32 v0, s5, v0
	s_addc_u32 s1, s11, s1
	v_cmp_eq_u32_e32 vcc, 0, v0
	s_and_saveexec_b64 s[2:3], vcc
	s_cbranch_execz .LBB9_32
; %bb.31:
	s_waitcnt lgkmcnt(0)
	s_sub_u32 s6, s6, s12
	s_subb_u32 s7, s7, s13
	s_bcnt1_i32_b64 s4, s[4:5]
	s_mul_i32 s7, s7, s4
	s_mul_hi_u32 s5, s6, s4
	s_add_i32 s5, s5, s7
	s_mul_i32 s6, s6, s4
	v_mov_b32_e32 v0, s6
	v_mov_b32_e32 v1, s5
	;; [unrolled: 1-line block ×3, first 2 shown]
	global_atomic_add_x2 v2, v[0:1], s[0:1]
	s_waitcnt vmcnt(0)
	buffer_wbinvl1_vol
.LBB9_32:
	s_or_b64 exec, exec, s[2:3]
	s_mov_b64 s[2:3], exec
	v_mbcnt_lo_u32_b32 v0, s2, 0
	v_mbcnt_hi_u32_b32 v0, s3, v0
	v_cmp_eq_u32_e32 vcc, 0, v0
	s_and_b64 s[4:5], exec, vcc
	s_mov_b64 exec, s[4:5]
	s_cbranch_execz .LBB9_34
; %bb.33:
	s_bcnt1_i32_b64 s2, s[2:3]
	s_mul_hi_i32 s3, s18, s2
	s_mul_i32 s2, s18, s2
	s_lshl_b64 s[2:3], s[2:3], 2
	v_mov_b32_e32 v0, s2
	v_mov_b32_e32 v2, 0
	;; [unrolled: 1-line block ×3, first 2 shown]
	s_waitcnt lgkmcnt(0)
	global_atomic_add_x2 v2, v[0:1], s[0:1] offset:448
	s_waitcnt vmcnt(0)
	buffer_wbinvl1_vol
.LBB9_34:
	s_endpgm
	.section	.rodata,"a",@progbits
	.p2align	6, 0x0
	.amdhsa_kernel _Z16flag_sync_kernelILi4ELi0EEvP15transfer_data_tP16profiling_data_tm
		.amdhsa_group_segment_fixed_size 0
		.amdhsa_private_segment_fixed_size 0
		.amdhsa_kernarg_size 24
		.amdhsa_user_sgpr_count 6
		.amdhsa_user_sgpr_private_segment_buffer 1
		.amdhsa_user_sgpr_dispatch_ptr 0
		.amdhsa_user_sgpr_queue_ptr 0
		.amdhsa_user_sgpr_kernarg_segment_ptr 1
		.amdhsa_user_sgpr_dispatch_id 0
		.amdhsa_user_sgpr_flat_scratch_init 0
		.amdhsa_user_sgpr_private_segment_size 0
		.amdhsa_uses_dynamic_stack 0
		.amdhsa_system_sgpr_private_segment_wavefront_offset 0
		.amdhsa_system_sgpr_workgroup_id_x 1
		.amdhsa_system_sgpr_workgroup_id_y 0
		.amdhsa_system_sgpr_workgroup_id_z 0
		.amdhsa_system_sgpr_workgroup_info 0
		.amdhsa_system_vgpr_workitem_id 0
		.amdhsa_next_free_vgpr 39
		.amdhsa_next_free_sgpr 28
		.amdhsa_reserve_vcc 1
		.amdhsa_reserve_flat_scratch 0
		.amdhsa_float_round_mode_32 0
		.amdhsa_float_round_mode_16_64 0
		.amdhsa_float_denorm_mode_32 3
		.amdhsa_float_denorm_mode_16_64 3
		.amdhsa_dx10_clamp 1
		.amdhsa_ieee_mode 1
		.amdhsa_fp16_overflow 0
		.amdhsa_exception_fp_ieee_invalid_op 0
		.amdhsa_exception_fp_denorm_src 0
		.amdhsa_exception_fp_ieee_div_zero 0
		.amdhsa_exception_fp_ieee_overflow 0
		.amdhsa_exception_fp_ieee_underflow 0
		.amdhsa_exception_fp_ieee_inexact 0
		.amdhsa_exception_int_div_zero 0
	.end_amdhsa_kernel
	.section	.text._Z16flag_sync_kernelILi4ELi0EEvP15transfer_data_tP16profiling_data_tm,"axG",@progbits,_Z16flag_sync_kernelILi4ELi0EEvP15transfer_data_tP16profiling_data_tm,comdat
.Lfunc_end9:
	.size	_Z16flag_sync_kernelILi4ELi0EEvP15transfer_data_tP16profiling_data_tm, .Lfunc_end9-_Z16flag_sync_kernelILi4ELi0EEvP15transfer_data_tP16profiling_data_tm
                                        ; -- End function
	.set _Z16flag_sync_kernelILi4ELi0EEvP15transfer_data_tP16profiling_data_tm.num_vgpr, 39
	.set _Z16flag_sync_kernelILi4ELi0EEvP15transfer_data_tP16profiling_data_tm.num_agpr, 0
	.set _Z16flag_sync_kernelILi4ELi0EEvP15transfer_data_tP16profiling_data_tm.numbered_sgpr, 28
	.set _Z16flag_sync_kernelILi4ELi0EEvP15transfer_data_tP16profiling_data_tm.num_named_barrier, 0
	.set _Z16flag_sync_kernelILi4ELi0EEvP15transfer_data_tP16profiling_data_tm.private_seg_size, 0
	.set _Z16flag_sync_kernelILi4ELi0EEvP15transfer_data_tP16profiling_data_tm.uses_vcc, 1
	.set _Z16flag_sync_kernelILi4ELi0EEvP15transfer_data_tP16profiling_data_tm.uses_flat_scratch, 0
	.set _Z16flag_sync_kernelILi4ELi0EEvP15transfer_data_tP16profiling_data_tm.has_dyn_sized_stack, 0
	.set _Z16flag_sync_kernelILi4ELi0EEvP15transfer_data_tP16profiling_data_tm.has_recursion, 0
	.set _Z16flag_sync_kernelILi4ELi0EEvP15transfer_data_tP16profiling_data_tm.has_indirect_call, 0
	.section	.AMDGPU.csdata,"",@progbits
; Kernel info:
; codeLenInByte = 1592
; TotalNumSgprs: 32
; NumVgprs: 39
; ScratchSize: 0
; MemoryBound: 0
; FloatMode: 240
; IeeeMode: 1
; LDSByteSize: 0 bytes/workgroup (compile time only)
; SGPRBlocks: 3
; VGPRBlocks: 9
; NumSGPRsForWavesPerEU: 32
; NumVGPRsForWavesPerEU: 39
; Occupancy: 6
; WaveLimiterHint : 1
; COMPUTE_PGM_RSRC2:SCRATCH_EN: 0
; COMPUTE_PGM_RSRC2:USER_SGPR: 6
; COMPUTE_PGM_RSRC2:TRAP_HANDLER: 0
; COMPUTE_PGM_RSRC2:TGID_X_EN: 1
; COMPUTE_PGM_RSRC2:TGID_Y_EN: 0
; COMPUTE_PGM_RSRC2:TGID_Z_EN: 0
; COMPUTE_PGM_RSRC2:TIDIG_COMP_CNT: 0
	.section	.text._Z16flag_sync_kernelILi4ELi1EEvP15transfer_data_tP16profiling_data_tm,"axG",@progbits,_Z16flag_sync_kernelILi4ELi1EEvP15transfer_data_tP16profiling_data_tm,comdat
	.protected	_Z16flag_sync_kernelILi4ELi1EEvP15transfer_data_tP16profiling_data_tm ; -- Begin function _Z16flag_sync_kernelILi4ELi1EEvP15transfer_data_tP16profiling_data_tm
	.globl	_Z16flag_sync_kernelILi4ELi1EEvP15transfer_data_tP16profiling_data_tm
	.p2align	8
	.type	_Z16flag_sync_kernelILi4ELi1EEvP15transfer_data_tP16profiling_data_tm,@function
_Z16flag_sync_kernelILi4ELi1EEvP15transfer_data_tP16profiling_data_tm: ; @_Z16flag_sync_kernelILi4ELi1EEvP15transfer_data_tP16profiling_data_tm
; %bb.0:
	s_mov_b64 s[26:27], s[2:3]
	s_mov_b64 s[24:25], s[0:1]
	s_load_dwordx4 s[8:11], s[4:5], 0x0
	s_load_dwordx2 s[2:3], s[4:5], 0x10
	s_add_u32 s24, s24, s7
	s_addc_u32 s25, s25, 0
	v_cmp_eq_u32_e64 s[0:1], 0, v0
	s_waitcnt lgkmcnt(0)
	s_load_dword s18, s[8:9], 0x8c0
	s_and_saveexec_b64 s[4:5], s[0:1]
	s_cbranch_execz .LBB10_10
; %bb.1:
	s_load_dword s12, s[8:9], 0x8c4
	s_load_dwordx2 s[16:17], s[8:9], 0x8d0
	s_mov_b64 s[14:15], src_private_base
	s_waitcnt lgkmcnt(0)
	s_ashr_i32 s13, s12, 31
	s_lshl_b64 s[12:13], s[12:13], 3
	s_add_u32 s12, s16, s12
	s_addc_u32 s13, s17, s13
	s_cmp_eq_u32 s13, s15
	s_cselect_b64 s[14:15], -1, 0
	s_andn2_b64 vcc, exec, s[14:15]
	s_mov_b64 s[14:15], -1
	s_cbranch_vccz .LBB10_3
; %bb.2:
	v_mov_b32_e32 v1, 1
	v_mov_b32_e32 v3, s12
	;; [unrolled: 1-line block ×4, first 2 shown]
	flat_atomic_add_x2 v[3:4], v[1:2]
	s_waitcnt vmcnt(0) lgkmcnt(0)
	buffer_wbinvl1_vol
	s_mov_b64 s[14:15], 0
.LBB10_3:
	s_andn2_b64 vcc, exec, s[14:15]
	s_cbranch_vccnz .LBB10_5
; %bb.4:
	s_cmp_lg_u64 s[12:13], 0
	s_cselect_b32 s7, s12, -1
	v_mov_b32_e32 v1, s7
	buffer_load_dword v2, v1, s[24:27], 0 offen
	buffer_load_dword v3, v1, s[24:27], 0 offen offset:4
	s_waitcnt vmcnt(1)
	v_add_co_u32_e32 v2, vcc, 1, v2
	s_waitcnt vmcnt(0)
	v_addc_co_u32_e32 v3, vcc, 0, v3, vcc
	buffer_store_dword v2, v1, s[24:27], 0 offen
	buffer_store_dword v3, v1, s[24:27], 0 offen offset:4
.LBB10_5:
	v_mov_b32_e32 v1, 0
	global_load_dword v2, v1, s[8:9] offset:2248
	s_waitcnt vmcnt(0)
	v_cmp_gt_i32_e32 vcc, 1, v2
	s_cbranch_vccnz .LBB10_10
; %bb.6:
	s_mov_b32 s13, 0
	s_mov_b32 s12, s13
.LBB10_7:                               ; =>This Loop Header: Depth=1
                                        ;     Child Loop BB10_8 Depth 2
	s_lshl_b64 s[16:17], s[12:13], 3
	s_mov_b64 s[14:15], 0
	v_mov_b32_e32 v2, s17
.LBB10_8:                               ;   Parent Loop BB10_7 Depth=1
                                        ; =>  This Inner Loop Header: Depth=2
	global_load_dwordx2 v[3:4], v1, s[8:9] offset:2256
	s_waitcnt vmcnt(0)
	v_add_co_u32_e32 v3, vcc, s16, v3
	v_addc_co_u32_e32 v4, vcc, v4, v2, vcc
	flat_load_dwordx2 v[3:4], v[3:4] glc
	s_waitcnt vmcnt(0) lgkmcnt(0)
	buffer_wbinvl1_vol
	v_cmp_le_u64_e32 vcc, s[2:3], v[3:4]
	s_or_b64 s[14:15], vcc, s[14:15]
	s_andn2_b64 exec, exec, s[14:15]
	s_cbranch_execnz .LBB10_8
; %bb.9:                                ;   in Loop: Header=BB10_7 Depth=1
	s_or_b64 exec, exec, s[14:15]
	global_load_dword v2, v1, s[8:9] offset:2248
	s_add_i32 s12, s12, 1
	s_waitcnt vmcnt(0)
	v_cmp_lt_i32_e32 vcc, s12, v2
	s_cbranch_vccnz .LBB10_7
.LBB10_10:
	s_or_b64 exec, exec, s[4:5]
	s_waitcnt lgkmcnt(0)
	s_barrier
                                        ; implicit-def: $sgpr12_sgpr13
	s_and_saveexec_b64 s[2:3], s[0:1]
; %bb.11:
	s_memrealtime s[12:13]
; %bb.12:
	s_or_b64 exec, exec, s[2:3]
	s_ashr_i32 s7, s6, 31
	s_cmp_lt_i32 s18, 1
	s_cbranch_scc1 .LBB10_34
; %bb.13:
	s_lshl_b64 s[2:3], s[6:7], 3
	s_add_u32 s2, s8, s2
	s_addc_u32 s3, s9, s3
	v_mov_b32_e32 v7, 0
	global_load_dwordx2 v[5:6], v7, s[2:3] offset:448
	global_load_dwordx2 v[3:4], v7, s[2:3] offset:1792
	global_load_dwordx2 v[1:2], v7, s[2:3]
	v_lshrrev_b32_e32 v8, 6, v0
	v_and_b32_e32 v9, 63, v0
	s_mov_b32 s4, 0
	s_waitcnt vmcnt(1)
	v_or_b32_e32 v7, v3, v5
	s_waitcnt vmcnt(0)
	v_or_b32_e32 v7, v7, v1
	v_and_b32_e32 v7, 3, v7
	v_cmp_eq_u32_e32 vcc, 0, v7
	v_lshl_or_b32 v7, v8, 8, v9
	s_cbranch_vccnz .LBB10_24
; %bb.14:
	v_lshl_or_b32 v8, v8, 8, v9
	s_mov_b64 s[8:9], -1
	s_cbranch_execnz .LBB10_25
.LBB10_15:
	s_lshr_b32 s2, s18, 2
	s_and_b32 s19, s2, 0x1fffff00
	v_cmp_gt_u32_e32 vcc, s19, v7
	s_and_saveexec_b64 s[14:15], vcc
	s_cbranch_execz .LBB10_18
; %bb.16:
	v_lshlrev_b32_e32 v12, 4, v7
	v_add_co_u32_e32 v8, vcc, v3, v12
	v_addc_co_u32_e32 v9, vcc, 0, v4, vcc
	v_add_co_u32_e32 v10, vcc, v5, v12
	v_addc_co_u32_e32 v11, vcc, 0, v6, vcc
	;; [unrolled: 2-line block ×3, first 2 shown]
	s_mov_b64 s[16:17], 0
	s_movk_i32 s20, 0x4000
	v_mov_b32_e32 v14, v7
.LBB10_17:                              ; =>This Inner Loop Header: Depth=1
	flat_load_dwordx4 v[15:18], v[8:9] glc slc
	flat_load_dwordx4 v[19:22], v[10:11] glc slc
	flat_load_dwordx4 v[23:26], v[10:11] offset:1024 glc slc
	flat_load_dwordx4 v[27:30], v[8:9] offset:1024 glc slc
	;; [unrolled: 1-line block ×3, first 2 shown]
	v_add_u32_e32 v14, 0x400, v14
	v_cmp_le_u32_e64 s[4:5], s19, v14
	s_or_b64 s[16:17], s[4:5], s[16:17]
	s_waitcnt vmcnt(0) lgkmcnt(0)
	v_add_f32_e32 v15, v19, v15
	v_add_f32_e32 v16, v20, v16
	;; [unrolled: 1-line block ×4, first 2 shown]
	flat_load_dwordx4 v[19:22], v[10:11] offset:2048 glc slc
	v_add_f32_e32 v23, v23, v27
	v_add_f32_e32 v24, v24, v28
	;; [unrolled: 1-line block ×4, first 2 shown]
	flat_load_dwordx4 v[27:30], v[10:11] offset:3072 glc slc
	flat_load_dwordx4 v[35:38], v[8:9] offset:3072 glc slc
	v_add_co_u32_e32 v10, vcc, s20, v10
	s_mov_b64 s[2:3], vcc
	v_add_co_u32_e32 v8, vcc, 0x4000, v8
	v_addc_co_u32_e32 v9, vcc, 0, v9, vcc
	v_addc_co_u32_e64 v11, s[2:3], 0, v11, s[2:3]
	s_waitcnt vmcnt(0) lgkmcnt(0)
	v_add_f32_e32 v19, v19, v31
	v_add_f32_e32 v20, v20, v32
	;; [unrolled: 1-line block ×8, first 2 shown]
	flat_store_dwordx4 v[12:13], v[15:18] glc slc
	flat_store_dwordx4 v[12:13], v[23:26] offset:1024 glc slc
	flat_store_dwordx4 v[12:13], v[19:22] offset:2048 glc slc
	;; [unrolled: 1-line block ×3, first 2 shown]
	v_add_co_u32_e32 v12, vcc, 0x4000, v12
	v_addc_co_u32_e32 v13, vcc, 0, v13, vcc
	s_andn2_b64 exec, exec, s[16:17]
	s_cbranch_execnz .LBB10_17
.LBB10_18:
	s_or_b64 exec, exec, s[14:15]
	s_lshl_b32 s4, s19, 2
	s_cmp_eq_u32 s18, s4
	s_cbranch_scc1 .LBB10_26
; %bb.19:
	s_sub_i32 s19, s18, s4
	s_ashr_i32 s20, s19, 2
	v_cmp_gt_i32_e32 vcc, s20, v0
	s_and_saveexec_b64 s[14:15], vcc
	s_cbranch_execz .LBB10_22
; %bb.20:
	s_mov_b32 s5, 0
	s_lshl_b64 s[2:3], s[4:5], 2
	v_mov_b32_e32 v12, s3
	v_add_co_u32_e32 v8, vcc, s2, v1
	v_addc_co_u32_e32 v9, vcc, v2, v12, vcc
	v_lshlrev_b32_e32 v13, 4, v0
	v_add_co_u32_e32 v8, vcc, v8, v13
	v_addc_co_u32_e32 v9, vcc, 0, v9, vcc
	v_add_co_u32_e32 v10, vcc, s2, v5
	v_addc_co_u32_e32 v11, vcc, v6, v12, vcc
	;; [unrolled: 2-line block ×5, first 2 shown]
	s_mov_b64 s[16:17], 0
	s_movk_i32 s5, 0x1000
	v_mov_b32_e32 v14, v0
.LBB10_21:                              ; =>This Inner Loop Header: Depth=1
	flat_load_dwordx4 v[15:18], v[10:11] glc slc
	flat_load_dwordx4 v[19:22], v[12:13] glc slc
	v_add_co_u32_e32 v10, vcc, s5, v10
	v_addc_co_u32_e32 v11, vcc, 0, v11, vcc
	v_add_co_u32_e32 v12, vcc, 0x1000, v12
	v_add_u32_e32 v14, 0x100, v14
	v_addc_co_u32_e32 v13, vcc, 0, v13, vcc
	v_cmp_le_i32_e64 s[2:3], s20, v14
	s_or_b64 s[16:17], s[2:3], s[16:17]
	s_waitcnt vmcnt(0) lgkmcnt(0)
	v_add_f32_e32 v15, v15, v19
	v_add_f32_e32 v16, v16, v20
	;; [unrolled: 1-line block ×4, first 2 shown]
	flat_store_dwordx4 v[8:9], v[15:18]
	v_add_co_u32_e32 v8, vcc, 0x1000, v8
	v_addc_co_u32_e32 v9, vcc, 0, v9, vcc
	s_andn2_b64 exec, exec, s[16:17]
	s_cbranch_execnz .LBB10_21
.LBB10_22:
	s_or_b64 exec, exec, s[14:15]
	s_and_b32 s16, s18, 3
	s_cmp_eq_u32 s16, 0
	s_cbranch_scc1 .LBB10_27
; %bb.23:
	s_and_b32 s2, s19, -4
	s_add_i32 s4, s2, s4
	s_cbranch_execnz .LBB10_28
	s_branch .LBB10_34
.LBB10_24:
	s_mov_b64 s[8:9], 0
                                        ; implicit-def: $vgpr8
	s_branch .LBB10_15
.LBB10_25:
	s_mov_b32 s16, s18
	v_mov_b32_e32 v7, v8
	s_and_b64 vcc, exec, s[8:9]
	s_cbranch_vccnz .LBB10_28
	s_branch .LBB10_34
.LBB10_26:
                                        ; implicit-def: $sgpr16
.LBB10_27:
                                        ; implicit-def: $sgpr4
	s_and_b64 vcc, exec, s[8:9]
	s_cbranch_vccz .LBB10_34
.LBB10_28:
	s_and_b32 s17, s16, 0x7fffff00
	v_cmp_gt_u32_e32 vcc, s17, v7
	s_and_saveexec_b64 s[8:9], vcc
	s_cbranch_execz .LBB10_31
; %bb.29:
	s_ashr_i32 s5, s4, 31
	s_lshl_b64 s[2:3], s[4:5], 2
	v_mov_b32_e32 v8, 0
	v_mov_b32_e32 v14, s3
	v_add_co_u32_e32 v9, vcc, s2, v1
	v_lshlrev_b64 v[12:13], 2, v[7:8]
	v_addc_co_u32_e32 v10, vcc, v2, v14, vcc
	v_add_co_u32_e32 v8, vcc, v9, v12
	v_addc_co_u32_e32 v9, vcc, v10, v13, vcc
	v_add_co_u32_e32 v10, vcc, s2, v5
	;; [unrolled: 2-line block ×5, first 2 shown]
	v_addc_co_u32_e32 v13, vcc, v14, v13, vcc
	s_mov_b64 s[14:15], 0
	s_movk_i32 s5, 0x1000
.LBB10_30:                              ; =>This Inner Loop Header: Depth=1
	flat_load_dword v14, v[10:11] glc slc
	flat_load_dword v15, v[10:11] offset:256 glc slc
	flat_load_dword v16, v[10:11] offset:512 glc slc
	;; [unrolled: 1-line block ×3, first 2 shown]
	flat_load_dword v18, v[12:13] glc slc
	flat_load_dword v19, v[12:13] offset:256 glc slc
	flat_load_dword v20, v[12:13] offset:512 glc slc
	;; [unrolled: 1-line block ×3, first 2 shown]
	v_add_co_u32_e32 v10, vcc, s5, v10
	v_addc_co_u32_e32 v11, vcc, 0, v11, vcc
	v_add_co_u32_e32 v12, vcc, 0x1000, v12
	v_add_u32_e32 v7, 0x400, v7
	v_addc_co_u32_e32 v13, vcc, 0, v13, vcc
	v_cmp_le_u32_e64 s[2:3], s17, v7
	s_or_b64 s[14:15], s[2:3], s[14:15]
	s_waitcnt vmcnt(0) lgkmcnt(0)
	v_add_f32_e32 v14, v14, v18
	v_add_f32_e32 v15, v15, v19
	;; [unrolled: 1-line block ×4, first 2 shown]
	flat_store_dword v[8:9], v14 glc slc
	flat_store_dword v[8:9], v15 offset:256 glc slc
	flat_store_dword v[8:9], v16 offset:512 glc slc
	;; [unrolled: 1-line block ×3, first 2 shown]
	v_add_co_u32_e32 v8, vcc, 0x1000, v8
	v_addc_co_u32_e32 v9, vcc, 0, v9, vcc
	s_andn2_b64 exec, exec, s[14:15]
	s_cbranch_execnz .LBB10_30
.LBB10_31:
	s_or_b64 exec, exec, s[8:9]
	s_and_b32 s5, s16, 0xff
	s_cmp_lg_u32 s5, 0
	s_cselect_b64 s[2:3], -1, 0
	v_cmp_gt_u32_e32 vcc, s5, v0
	s_and_b64 s[8:9], s[2:3], vcc
	s_and_saveexec_b64 s[2:3], s[8:9]
	s_cbranch_execz .LBB10_33
; %bb.32:
	s_add_i32 s4, s17, s4
	s_ashr_i32 s5, s4, 31
	s_lshl_b64 s[4:5], s[4:5], 2
	v_mov_b32_e32 v7, s5
	v_add_co_u32_e32 v5, vcc, s4, v5
	v_lshlrev_b32_e32 v0, 2, v0
	v_addc_co_u32_e32 v6, vcc, v6, v7, vcc
	v_add_co_u32_e32 v5, vcc, v5, v0
	v_addc_co_u32_e32 v6, vcc, 0, v6, vcc
	v_add_co_u32_e32 v3, vcc, s4, v3
	;; [unrolled: 2-line block ×3, first 2 shown]
	v_addc_co_u32_e32 v4, vcc, 0, v4, vcc
	flat_load_dword v8, v[5:6] glc slc
	flat_load_dword v9, v[3:4] glc slc
	v_add_co_u32_e32 v1, vcc, s4, v1
	v_addc_co_u32_e32 v2, vcc, v2, v7, vcc
	v_add_co_u32_e32 v0, vcc, v1, v0
	v_addc_co_u32_e32 v1, vcc, 0, v2, vcc
	s_waitcnt vmcnt(0) lgkmcnt(0)
	v_add_f32_e32 v2, v8, v9
	flat_store_dword v[0:1], v2 glc slc
.LBB10_33:
	s_or_b64 exec, exec, s[2:3]
.LBB10_34:
	s_waitcnt vmcnt(0) lgkmcnt(0)
	s_barrier
	s_and_saveexec_b64 s[2:3], s[0:1]
	s_cbranch_execz .LBB10_39
; %bb.35:
	s_lshl_b64 s[0:1], s[6:7], 3
	s_memrealtime s[6:7]
	s_mov_b64 s[4:5], exec
	v_mbcnt_lo_u32_b32 v0, s4, 0
	s_add_u32 s0, s10, s0
	v_mbcnt_hi_u32_b32 v0, s5, v0
	s_addc_u32 s1, s11, s1
	v_cmp_eq_u32_e32 vcc, 0, v0
	s_and_saveexec_b64 s[2:3], vcc
	s_cbranch_execz .LBB10_37
; %bb.36:
	s_waitcnt lgkmcnt(0)
	s_sub_u32 s6, s6, s12
	s_subb_u32 s7, s7, s13
	s_bcnt1_i32_b64 s4, s[4:5]
	s_mul_i32 s7, s7, s4
	s_mul_hi_u32 s5, s6, s4
	s_add_i32 s5, s5, s7
	s_mul_i32 s6, s6, s4
	v_mov_b32_e32 v0, s6
	v_mov_b32_e32 v1, s5
	;; [unrolled: 1-line block ×3, first 2 shown]
	global_atomic_add_x2 v2, v[0:1], s[0:1]
	s_waitcnt vmcnt(0)
	buffer_wbinvl1_vol
.LBB10_37:
	s_or_b64 exec, exec, s[2:3]
	s_mov_b64 s[2:3], exec
	v_mbcnt_lo_u32_b32 v0, s2, 0
	v_mbcnt_hi_u32_b32 v0, s3, v0
	v_cmp_eq_u32_e32 vcc, 0, v0
	s_and_b64 s[4:5], exec, vcc
	s_mov_b64 exec, s[4:5]
	s_cbranch_execz .LBB10_39
; %bb.38:
	s_bcnt1_i32_b64 s2, s[2:3]
	s_mul_hi_i32 s3, s18, s2
	s_mul_i32 s2, s18, s2
	s_lshl_b64 s[2:3], s[2:3], 2
	v_mov_b32_e32 v0, s2
	v_mov_b32_e32 v2, 0
	v_mov_b32_e32 v1, s3
	s_waitcnt lgkmcnt(0)
	global_atomic_add_x2 v2, v[0:1], s[0:1] offset:448
	s_waitcnt vmcnt(0)
	buffer_wbinvl1_vol
.LBB10_39:
	s_endpgm
	.section	.rodata,"a",@progbits
	.p2align	6, 0x0
	.amdhsa_kernel _Z16flag_sync_kernelILi4ELi1EEvP15transfer_data_tP16profiling_data_tm
		.amdhsa_group_segment_fixed_size 0
		.amdhsa_private_segment_fixed_size 0
		.amdhsa_kernarg_size 24
		.amdhsa_user_sgpr_count 6
		.amdhsa_user_sgpr_private_segment_buffer 1
		.amdhsa_user_sgpr_dispatch_ptr 0
		.amdhsa_user_sgpr_queue_ptr 0
		.amdhsa_user_sgpr_kernarg_segment_ptr 1
		.amdhsa_user_sgpr_dispatch_id 0
		.amdhsa_user_sgpr_flat_scratch_init 0
		.amdhsa_user_sgpr_private_segment_size 0
		.amdhsa_uses_dynamic_stack 0
		.amdhsa_system_sgpr_private_segment_wavefront_offset 0
		.amdhsa_system_sgpr_workgroup_id_x 1
		.amdhsa_system_sgpr_workgroup_id_y 0
		.amdhsa_system_sgpr_workgroup_id_z 0
		.amdhsa_system_sgpr_workgroup_info 0
		.amdhsa_system_vgpr_workitem_id 0
		.amdhsa_next_free_vgpr 39
		.amdhsa_next_free_sgpr 28
		.amdhsa_reserve_vcc 1
		.amdhsa_reserve_flat_scratch 0
		.amdhsa_float_round_mode_32 0
		.amdhsa_float_round_mode_16_64 0
		.amdhsa_float_denorm_mode_32 3
		.amdhsa_float_denorm_mode_16_64 3
		.amdhsa_dx10_clamp 1
		.amdhsa_ieee_mode 1
		.amdhsa_fp16_overflow 0
		.amdhsa_exception_fp_ieee_invalid_op 0
		.amdhsa_exception_fp_denorm_src 0
		.amdhsa_exception_fp_ieee_div_zero 0
		.amdhsa_exception_fp_ieee_overflow 0
		.amdhsa_exception_fp_ieee_underflow 0
		.amdhsa_exception_fp_ieee_inexact 0
		.amdhsa_exception_int_div_zero 0
	.end_amdhsa_kernel
	.section	.text._Z16flag_sync_kernelILi4ELi1EEvP15transfer_data_tP16profiling_data_tm,"axG",@progbits,_Z16flag_sync_kernelILi4ELi1EEvP15transfer_data_tP16profiling_data_tm,comdat
.Lfunc_end10:
	.size	_Z16flag_sync_kernelILi4ELi1EEvP15transfer_data_tP16profiling_data_tm, .Lfunc_end10-_Z16flag_sync_kernelILi4ELi1EEvP15transfer_data_tP16profiling_data_tm
                                        ; -- End function
	.set _Z16flag_sync_kernelILi4ELi1EEvP15transfer_data_tP16profiling_data_tm.num_vgpr, 39
	.set _Z16flag_sync_kernelILi4ELi1EEvP15transfer_data_tP16profiling_data_tm.num_agpr, 0
	.set _Z16flag_sync_kernelILi4ELi1EEvP15transfer_data_tP16profiling_data_tm.numbered_sgpr, 28
	.set _Z16flag_sync_kernelILi4ELi1EEvP15transfer_data_tP16profiling_data_tm.num_named_barrier, 0
	.set _Z16flag_sync_kernelILi4ELi1EEvP15transfer_data_tP16profiling_data_tm.private_seg_size, 0
	.set _Z16flag_sync_kernelILi4ELi1EEvP15transfer_data_tP16profiling_data_tm.uses_vcc, 1
	.set _Z16flag_sync_kernelILi4ELi1EEvP15transfer_data_tP16profiling_data_tm.uses_flat_scratch, 0
	.set _Z16flag_sync_kernelILi4ELi1EEvP15transfer_data_tP16profiling_data_tm.has_dyn_sized_stack, 0
	.set _Z16flag_sync_kernelILi4ELi1EEvP15transfer_data_tP16profiling_data_tm.has_recursion, 0
	.set _Z16flag_sync_kernelILi4ELi1EEvP15transfer_data_tP16profiling_data_tm.has_indirect_call, 0
	.section	.AMDGPU.csdata,"",@progbits
; Kernel info:
; codeLenInByte = 1728
; TotalNumSgprs: 32
; NumVgprs: 39
; ScratchSize: 0
; MemoryBound: 0
; FloatMode: 240
; IeeeMode: 1
; LDSByteSize: 0 bytes/workgroup (compile time only)
; SGPRBlocks: 3
; VGPRBlocks: 9
; NumSGPRsForWavesPerEU: 32
; NumVGPRsForWavesPerEU: 39
; Occupancy: 6
; WaveLimiterHint : 1
; COMPUTE_PGM_RSRC2:SCRATCH_EN: 0
; COMPUTE_PGM_RSRC2:USER_SGPR: 6
; COMPUTE_PGM_RSRC2:TRAP_HANDLER: 0
; COMPUTE_PGM_RSRC2:TGID_X_EN: 1
; COMPUTE_PGM_RSRC2:TGID_Y_EN: 0
; COMPUTE_PGM_RSRC2:TGID_Z_EN: 0
; COMPUTE_PGM_RSRC2:TIDIG_COMP_CNT: 0
	.section	.text._Z16flag_sync_kernelILi5ELi0EEvP15transfer_data_tP16profiling_data_tm,"axG",@progbits,_Z16flag_sync_kernelILi5ELi0EEvP15transfer_data_tP16profiling_data_tm,comdat
	.protected	_Z16flag_sync_kernelILi5ELi0EEvP15transfer_data_tP16profiling_data_tm ; -- Begin function _Z16flag_sync_kernelILi5ELi0EEvP15transfer_data_tP16profiling_data_tm
	.globl	_Z16flag_sync_kernelILi5ELi0EEvP15transfer_data_tP16profiling_data_tm
	.p2align	8
	.type	_Z16flag_sync_kernelILi5ELi0EEvP15transfer_data_tP16profiling_data_tm,@function
_Z16flag_sync_kernelILi5ELi0EEvP15transfer_data_tP16profiling_data_tm: ; @_Z16flag_sync_kernelILi5ELi0EEvP15transfer_data_tP16profiling_data_tm
; %bb.0:
	s_load_dwordx4 s[8:11], s[4:5], 0x0
	s_mov_b64 s[26:27], s[2:3]
	s_mov_b64 s[24:25], s[0:1]
	s_add_u32 s24, s24, s7
	s_addc_u32 s25, s25, 0
	s_waitcnt lgkmcnt(0)
	s_load_dword s18, s[8:9], 0x8c0
	v_cmp_eq_u32_e64 s[0:1], 0, v0
	s_and_saveexec_b64 s[2:3], s[0:1]
	s_cbranch_execz .LBB11_5
; %bb.1:
	s_load_dword s4, s[8:9], 0x8c4
	s_load_dwordx2 s[14:15], s[8:9], 0x8d0
	s_mov_b64 s[12:13], src_private_base
	s_waitcnt lgkmcnt(0)
	s_ashr_i32 s5, s4, 31
	s_lshl_b64 s[4:5], s[4:5], 3
	s_add_u32 s4, s14, s4
	s_addc_u32 s5, s15, s5
	s_cmp_eq_u32 s5, s13
	s_cselect_b64 s[12:13], -1, 0
	s_andn2_b64 vcc, exec, s[12:13]
	s_mov_b64 s[12:13], -1
	s_cbranch_vccz .LBB11_3
; %bb.2:
	v_mov_b32_e32 v1, 1
	v_mov_b32_e32 v3, s4
	;; [unrolled: 1-line block ×4, first 2 shown]
	flat_atomic_add_x2 v[3:4], v[1:2]
	s_waitcnt vmcnt(0) lgkmcnt(0)
	buffer_wbinvl1_vol
	s_mov_b64 s[12:13], 0
.LBB11_3:
	s_andn2_b64 vcc, exec, s[12:13]
	s_cbranch_vccnz .LBB11_5
; %bb.4:
	s_cmp_lg_u64 s[4:5], 0
	s_cselect_b32 s4, s4, -1
	v_mov_b32_e32 v1, s4
	buffer_load_dword v2, v1, s[24:27], 0 offen
	buffer_load_dword v3, v1, s[24:27], 0 offen offset:4
	s_waitcnt vmcnt(1)
	v_add_co_u32_e32 v2, vcc, 1, v2
	s_waitcnt vmcnt(0)
	v_addc_co_u32_e32 v3, vcc, 0, v3, vcc
	buffer_store_dword v2, v1, s[24:27], 0 offen
	buffer_store_dword v3, v1, s[24:27], 0 offen offset:4
.LBB11_5:
	s_or_b64 exec, exec, s[2:3]
	s_waitcnt vmcnt(0) lgkmcnt(0)
	s_barrier
                                        ; implicit-def: $sgpr12_sgpr13
	s_and_saveexec_b64 s[2:3], s[0:1]
; %bb.6:
	s_memrealtime s[12:13]
; %bb.7:
	s_or_b64 exec, exec, s[2:3]
	s_ashr_i32 s7, s6, 31
	s_cmp_lt_i32 s18, 1
	s_cbranch_scc1 .LBB11_29
; %bb.8:
	s_lshl_b64 s[2:3], s[6:7], 3
	s_add_u32 s2, s8, s2
	s_addc_u32 s3, s9, s3
	v_mov_b32_e32 v9, 0
	global_load_dwordx2 v[7:8], v9, s[2:3] offset:448
	global_load_dwordx2 v[5:6], v9, s[2:3] offset:1792
	;; [unrolled: 1-line block ×3, first 2 shown]
	global_load_dwordx2 v[3:4], v9, s[2:3]
	v_lshrrev_b32_e32 v10, 6, v0
	v_and_b32_e32 v11, 63, v0
	s_mov_b32 s4, 0
	s_waitcnt vmcnt(2)
	v_or_b32_e32 v9, v5, v7
	s_waitcnt vmcnt(0)
	v_or_b32_e32 v9, v9, v3
	v_or_b32_e32 v9, v9, v1
	v_and_b32_e32 v9, 3, v9
	v_cmp_eq_u32_e32 vcc, 0, v9
	v_lshl_or_b32 v9, v10, 8, v11
	s_cbranch_vccnz .LBB11_19
; %bb.9:
	v_lshl_or_b32 v10, v10, 8, v11
	s_mov_b64 s[8:9], -1
	s_cbranch_execnz .LBB11_20
.LBB11_10:
	s_lshr_b32 s2, s18, 2
	s_and_b32 s19, s2, 0x1fffff00
	v_cmp_gt_u32_e32 vcc, s19, v9
	s_and_saveexec_b64 s[14:15], vcc
	s_cbranch_execz .LBB11_13
; %bb.11:
	v_lshlrev_b32_e32 v16, 4, v9
	v_add_co_u32_e32 v10, vcc, v1, v16
	v_addc_co_u32_e32 v11, vcc, 0, v2, vcc
	v_add_co_u32_e32 v12, vcc, v3, v16
	v_addc_co_u32_e32 v13, vcc, 0, v4, vcc
	;; [unrolled: 2-line block ×4, first 2 shown]
	s_mov_b64 s[16:17], 0
	s_movk_i32 s20, 0x4000
	v_mov_b32_e32 v18, v9
.LBB11_12:                              ; =>This Inner Loop Header: Depth=1
	flat_load_dwordx4 v[19:22], v[14:15] glc slc
	flat_load_dwordx4 v[23:26], v[16:17] glc slc
	flat_load_dwordx4 v[27:30], v[16:17] offset:1024 glc slc
	flat_load_dwordx4 v[31:34], v[14:15] offset:1024 glc slc
	;; [unrolled: 1-line block ×3, first 2 shown]
	v_add_u32_e32 v18, 0x400, v18
	v_cmp_le_u32_e64 s[4:5], s19, v18
	s_or_b64 s[16:17], s[4:5], s[16:17]
	s_waitcnt vmcnt(0) lgkmcnt(0)
	v_add_f32_e32 v19, v23, v19
	v_add_f32_e32 v20, v24, v20
	;; [unrolled: 1-line block ×4, first 2 shown]
	flat_load_dwordx4 v[23:26], v[16:17] offset:2048 glc slc
	v_add_f32_e32 v27, v27, v31
	v_add_f32_e32 v28, v28, v32
	;; [unrolled: 1-line block ×4, first 2 shown]
	flat_load_dwordx4 v[31:34], v[16:17] offset:3072 glc slc
	flat_load_dwordx4 v[39:42], v[14:15] offset:3072 glc slc
	v_add_co_u32_e32 v16, vcc, s20, v16
	s_mov_b64 s[2:3], vcc
	v_add_co_u32_e32 v14, vcc, s20, v14
	v_addc_co_u32_e32 v15, vcc, 0, v15, vcc
	v_addc_co_u32_e64 v17, s[2:3], 0, v17, s[2:3]
	s_waitcnt vmcnt(0) lgkmcnt(0)
	v_add_f32_e32 v23, v23, v35
	v_add_f32_e32 v24, v24, v36
	;; [unrolled: 1-line block ×8, first 2 shown]
	flat_store_dwordx4 v[12:13], v[19:22] glc slc
	flat_store_dwordx4 v[12:13], v[27:30] offset:1024 glc slc
	flat_store_dwordx4 v[12:13], v[23:26] offset:2048 glc slc
	;; [unrolled: 1-line block ×3, first 2 shown]
	flat_store_dwordx4 v[10:11], v[19:22] glc slc
	flat_store_dwordx4 v[10:11], v[27:30] offset:1024 glc slc
	flat_store_dwordx4 v[10:11], v[23:26] offset:2048 glc slc
	;; [unrolled: 1-line block ×3, first 2 shown]
	v_add_co_u32_e32 v12, vcc, 0x4000, v12
	s_mov_b64 s[2:3], vcc
	v_add_co_u32_e32 v10, vcc, 0x4000, v10
	v_addc_co_u32_e64 v13, s[2:3], 0, v13, s[2:3]
	v_addc_co_u32_e32 v11, vcc, 0, v11, vcc
	s_andn2_b64 exec, exec, s[16:17]
	s_cbranch_execnz .LBB11_12
.LBB11_13:
	s_or_b64 exec, exec, s[14:15]
	s_lshl_b32 s4, s19, 2
	s_cmp_eq_u32 s18, s4
	s_cbranch_scc1 .LBB11_21
; %bb.14:
	s_sub_i32 s19, s18, s4
	s_ashr_i32 s20, s19, 2
	v_cmp_gt_i32_e32 vcc, s20, v0
	s_and_saveexec_b64 s[14:15], vcc
	s_cbranch_execz .LBB11_17
; %bb.15:
	s_mov_b32 s5, 0
	s_lshl_b64 s[2:3], s[4:5], 2
	v_mov_b32_e32 v16, s3
	v_add_co_u32_e32 v10, vcc, s2, v7
	v_addc_co_u32_e32 v11, vcc, v8, v16, vcc
	v_lshlrev_b32_e32 v17, 4, v0
	v_add_co_u32_e32 v10, vcc, v10, v17
	v_addc_co_u32_e32 v11, vcc, 0, v11, vcc
	v_add_co_u32_e32 v12, vcc, s2, v5
	v_addc_co_u32_e32 v13, vcc, v6, v16, vcc
	;; [unrolled: 2-line block ×7, first 2 shown]
	s_mov_b64 s[16:17], 0
	s_movk_i32 s5, 0x1000
	v_mov_b32_e32 v18, v0
.LBB11_16:                              ; =>This Inner Loop Header: Depth=1
	flat_load_dwordx4 v[19:22], v[10:11] glc slc
	flat_load_dwordx4 v[23:26], v[12:13] glc slc
	v_add_co_u32_e32 v10, vcc, s5, v10
	v_addc_co_u32_e32 v11, vcc, 0, v11, vcc
	v_add_co_u32_e32 v12, vcc, s5, v12
	v_addc_co_u32_e32 v13, vcc, 0, v13, vcc
	v_add_u32_e32 v18, 0x100, v18
	v_cmp_le_i32_e64 s[2:3], s20, v18
	s_or_b64 s[16:17], s[2:3], s[16:17]
	s_waitcnt vmcnt(0) lgkmcnt(0)
	v_add_f32_e32 v19, v19, v23
	v_add_f32_e32 v20, v20, v24
	;; [unrolled: 1-line block ×4, first 2 shown]
	flat_store_dwordx4 v[14:15], v[19:22]
	flat_store_dwordx4 v[16:17], v[19:22]
	v_add_co_u32_e32 v14, vcc, 0x1000, v14
	v_addc_co_u32_e32 v15, vcc, 0, v15, vcc
	v_add_co_u32_e32 v16, vcc, 0x1000, v16
	v_addc_co_u32_e32 v17, vcc, 0, v17, vcc
	s_andn2_b64 exec, exec, s[16:17]
	s_cbranch_execnz .LBB11_16
.LBB11_17:
	s_or_b64 exec, exec, s[14:15]
	s_and_b32 s16, s18, 3
	s_cmp_eq_u32 s16, 0
	s_cbranch_scc1 .LBB11_22
; %bb.18:
	s_and_b32 s2, s19, -4
	s_add_i32 s4, s2, s4
	s_cbranch_execnz .LBB11_23
	s_branch .LBB11_29
.LBB11_19:
	s_mov_b64 s[8:9], 0
                                        ; implicit-def: $vgpr10
	s_branch .LBB11_10
.LBB11_20:
	s_mov_b32 s16, s18
	v_mov_b32_e32 v9, v10
	s_and_b64 vcc, exec, s[8:9]
	s_cbranch_vccnz .LBB11_23
	s_branch .LBB11_29
.LBB11_21:
                                        ; implicit-def: $sgpr16
.LBB11_22:
                                        ; implicit-def: $sgpr4
	s_and_b64 vcc, exec, s[8:9]
	s_cbranch_vccz .LBB11_29
.LBB11_23:
	s_and_b32 s17, s16, 0x7fffff00
	v_cmp_gt_u32_e32 vcc, s17, v9
	s_and_saveexec_b64 s[8:9], vcc
	s_cbranch_execz .LBB11_26
; %bb.24:
	s_ashr_i32 s5, s4, 31
	s_lshl_b64 s[2:3], s[4:5], 2
	v_mov_b32_e32 v10, 0
	v_mov_b32_e32 v18, s3
	v_add_co_u32_e32 v11, vcc, s2, v7
	v_lshlrev_b64 v[16:17], 2, v[9:10]
	v_addc_co_u32_e32 v12, vcc, v8, v18, vcc
	v_add_co_u32_e32 v10, vcc, v11, v16
	v_addc_co_u32_e32 v11, vcc, v12, v17, vcc
	v_add_co_u32_e32 v12, vcc, s2, v5
	;; [unrolled: 2-line block ×7, first 2 shown]
	v_addc_co_u32_e32 v17, vcc, v18, v17, vcc
	s_mov_b64 s[14:15], 0
	s_movk_i32 s5, 0x1000
.LBB11_25:                              ; =>This Inner Loop Header: Depth=1
	flat_load_dword v18, v[10:11] glc slc
	flat_load_dword v19, v[10:11] offset:256 glc slc
	flat_load_dword v20, v[10:11] offset:512 glc slc
	;; [unrolled: 1-line block ×3, first 2 shown]
	flat_load_dword v22, v[12:13] glc slc
	flat_load_dword v23, v[12:13] offset:256 glc slc
	flat_load_dword v24, v[12:13] offset:512 glc slc
	;; [unrolled: 1-line block ×3, first 2 shown]
	v_add_co_u32_e32 v10, vcc, s5, v10
	v_addc_co_u32_e32 v11, vcc, 0, v11, vcc
	v_add_co_u32_e32 v12, vcc, s5, v12
	v_addc_co_u32_e32 v13, vcc, 0, v13, vcc
	v_add_u32_e32 v9, 0x400, v9
	v_cmp_le_u32_e64 s[2:3], s17, v9
	s_or_b64 s[14:15], s[2:3], s[14:15]
	s_waitcnt vmcnt(0) lgkmcnt(0)
	v_add_f32_e32 v18, v18, v22
	v_add_f32_e32 v19, v19, v23
	;; [unrolled: 1-line block ×4, first 2 shown]
	flat_store_dword v[14:15], v18 glc slc
	flat_store_dword v[14:15], v19 offset:256 glc slc
	flat_store_dword v[14:15], v20 offset:512 glc slc
	;; [unrolled: 1-line block ×3, first 2 shown]
	flat_store_dword v[16:17], v18 glc slc
	flat_store_dword v[16:17], v19 offset:256 glc slc
	flat_store_dword v[16:17], v20 offset:512 glc slc
	;; [unrolled: 1-line block ×3, first 2 shown]
	v_add_co_u32_e32 v14, vcc, 0x1000, v14
	v_addc_co_u32_e32 v15, vcc, 0, v15, vcc
	v_add_co_u32_e32 v16, vcc, 0x1000, v16
	v_addc_co_u32_e32 v17, vcc, 0, v17, vcc
	s_andn2_b64 exec, exec, s[14:15]
	s_cbranch_execnz .LBB11_25
.LBB11_26:
	s_or_b64 exec, exec, s[8:9]
	s_and_b32 s5, s16, 0xff
	s_cmp_lg_u32 s5, 0
	s_cselect_b64 s[2:3], -1, 0
	v_cmp_gt_u32_e32 vcc, s5, v0
	s_and_b64 s[8:9], s[2:3], vcc
	s_and_saveexec_b64 s[2:3], s[8:9]
	s_cbranch_execz .LBB11_28
; %bb.27:
	s_add_i32 s4, s17, s4
	s_ashr_i32 s5, s4, 31
	s_lshl_b64 s[4:5], s[4:5], 2
	v_mov_b32_e32 v9, s5
	v_add_co_u32_e32 v7, vcc, s4, v7
	v_addc_co_u32_e32 v8, vcc, v8, v9, vcc
	v_lshlrev_b32_e32 v10, 2, v0
	v_add_co_u32_e32 v7, vcc, v7, v10
	v_addc_co_u32_e32 v8, vcc, 0, v8, vcc
	v_add_co_u32_e32 v0, vcc, s4, v5
	v_addc_co_u32_e32 v6, vcc, v6, v9, vcc
	;; [unrolled: 2-line block ×3, first 2 shown]
	flat_load_dword v11, v[7:8] glc slc
	flat_load_dword v12, v[5:6] glc slc
	v_add_co_u32_e32 v0, vcc, s4, v3
	v_addc_co_u32_e32 v3, vcc, v4, v9, vcc
	v_add_co_u32_e32 v4, vcc, s4, v1
	v_addc_co_u32_e32 v5, vcc, v2, v9, vcc
	;; [unrolled: 2-line block ×4, first 2 shown]
	s_waitcnt vmcnt(0) lgkmcnt(0)
	v_add_f32_e32 v4, v11, v12
	flat_store_dword v[0:1], v4 glc slc
	flat_store_dword v[2:3], v4 glc slc
.LBB11_28:
	s_or_b64 exec, exec, s[2:3]
.LBB11_29:
	s_waitcnt vmcnt(0) lgkmcnt(0)
	s_barrier
	s_and_saveexec_b64 s[2:3], s[0:1]
	s_cbranch_execz .LBB11_34
; %bb.30:
	s_lshl_b64 s[0:1], s[6:7], 3
	s_memrealtime s[6:7]
	s_mov_b64 s[4:5], exec
	v_mbcnt_lo_u32_b32 v0, s4, 0
	s_add_u32 s0, s10, s0
	v_mbcnt_hi_u32_b32 v0, s5, v0
	s_addc_u32 s1, s11, s1
	v_cmp_eq_u32_e32 vcc, 0, v0
	s_and_saveexec_b64 s[2:3], vcc
	s_cbranch_execz .LBB11_32
; %bb.31:
	s_waitcnt lgkmcnt(0)
	s_sub_u32 s6, s6, s12
	s_subb_u32 s7, s7, s13
	s_bcnt1_i32_b64 s4, s[4:5]
	s_mul_i32 s7, s7, s4
	s_mul_hi_u32 s5, s6, s4
	s_add_i32 s5, s5, s7
	s_mul_i32 s6, s6, s4
	v_mov_b32_e32 v0, s6
	v_mov_b32_e32 v1, s5
	;; [unrolled: 1-line block ×3, first 2 shown]
	global_atomic_add_x2 v2, v[0:1], s[0:1]
	s_waitcnt vmcnt(0)
	buffer_wbinvl1_vol
.LBB11_32:
	s_or_b64 exec, exec, s[2:3]
	s_mov_b64 s[2:3], exec
	v_mbcnt_lo_u32_b32 v0, s2, 0
	v_mbcnt_hi_u32_b32 v0, s3, v0
	v_cmp_eq_u32_e32 vcc, 0, v0
	s_and_b64 s[4:5], exec, vcc
	s_mov_b64 exec, s[4:5]
	s_cbranch_execz .LBB11_34
; %bb.33:
	s_bcnt1_i32_b64 s2, s[2:3]
	s_mul_hi_i32 s3, s18, s2
	s_mul_i32 s2, s18, s2
	s_lshl_b64 s[2:3], s[2:3], 2
	v_mov_b32_e32 v0, s2
	v_mov_b32_e32 v2, 0
	;; [unrolled: 1-line block ×3, first 2 shown]
	s_waitcnt lgkmcnt(0)
	global_atomic_add_x2 v2, v[0:1], s[0:1] offset:448
	s_waitcnt vmcnt(0)
	buffer_wbinvl1_vol
.LBB11_34:
	s_endpgm
	.section	.rodata,"a",@progbits
	.p2align	6, 0x0
	.amdhsa_kernel _Z16flag_sync_kernelILi5ELi0EEvP15transfer_data_tP16profiling_data_tm
		.amdhsa_group_segment_fixed_size 0
		.amdhsa_private_segment_fixed_size 0
		.amdhsa_kernarg_size 24
		.amdhsa_user_sgpr_count 6
		.amdhsa_user_sgpr_private_segment_buffer 1
		.amdhsa_user_sgpr_dispatch_ptr 0
		.amdhsa_user_sgpr_queue_ptr 0
		.amdhsa_user_sgpr_kernarg_segment_ptr 1
		.amdhsa_user_sgpr_dispatch_id 0
		.amdhsa_user_sgpr_flat_scratch_init 0
		.amdhsa_user_sgpr_private_segment_size 0
		.amdhsa_uses_dynamic_stack 0
		.amdhsa_system_sgpr_private_segment_wavefront_offset 0
		.amdhsa_system_sgpr_workgroup_id_x 1
		.amdhsa_system_sgpr_workgroup_id_y 0
		.amdhsa_system_sgpr_workgroup_id_z 0
		.amdhsa_system_sgpr_workgroup_info 0
		.amdhsa_system_vgpr_workitem_id 0
		.amdhsa_next_free_vgpr 43
		.amdhsa_next_free_sgpr 28
		.amdhsa_reserve_vcc 1
		.amdhsa_reserve_flat_scratch 0
		.amdhsa_float_round_mode_32 0
		.amdhsa_float_round_mode_16_64 0
		.amdhsa_float_denorm_mode_32 3
		.amdhsa_float_denorm_mode_16_64 3
		.amdhsa_dx10_clamp 1
		.amdhsa_ieee_mode 1
		.amdhsa_fp16_overflow 0
		.amdhsa_exception_fp_ieee_invalid_op 0
		.amdhsa_exception_fp_denorm_src 0
		.amdhsa_exception_fp_ieee_div_zero 0
		.amdhsa_exception_fp_ieee_overflow 0
		.amdhsa_exception_fp_ieee_underflow 0
		.amdhsa_exception_fp_ieee_inexact 0
		.amdhsa_exception_int_div_zero 0
	.end_amdhsa_kernel
	.section	.text._Z16flag_sync_kernelILi5ELi0EEvP15transfer_data_tP16profiling_data_tm,"axG",@progbits,_Z16flag_sync_kernelILi5ELi0EEvP15transfer_data_tP16profiling_data_tm,comdat
.Lfunc_end11:
	.size	_Z16flag_sync_kernelILi5ELi0EEvP15transfer_data_tP16profiling_data_tm, .Lfunc_end11-_Z16flag_sync_kernelILi5ELi0EEvP15transfer_data_tP16profiling_data_tm
                                        ; -- End function
	.set _Z16flag_sync_kernelILi5ELi0EEvP15transfer_data_tP16profiling_data_tm.num_vgpr, 43
	.set _Z16flag_sync_kernelILi5ELi0EEvP15transfer_data_tP16profiling_data_tm.num_agpr, 0
	.set _Z16flag_sync_kernelILi5ELi0EEvP15transfer_data_tP16profiling_data_tm.numbered_sgpr, 28
	.set _Z16flag_sync_kernelILi5ELi0EEvP15transfer_data_tP16profiling_data_tm.num_named_barrier, 0
	.set _Z16flag_sync_kernelILi5ELi0EEvP15transfer_data_tP16profiling_data_tm.private_seg_size, 0
	.set _Z16flag_sync_kernelILi5ELi0EEvP15transfer_data_tP16profiling_data_tm.uses_vcc, 1
	.set _Z16flag_sync_kernelILi5ELi0EEvP15transfer_data_tP16profiling_data_tm.uses_flat_scratch, 0
	.set _Z16flag_sync_kernelILi5ELi0EEvP15transfer_data_tP16profiling_data_tm.has_dyn_sized_stack, 0
	.set _Z16flag_sync_kernelILi5ELi0EEvP15transfer_data_tP16profiling_data_tm.has_recursion, 0
	.set _Z16flag_sync_kernelILi5ELi0EEvP15transfer_data_tP16profiling_data_tm.has_indirect_call, 0
	.section	.AMDGPU.csdata,"",@progbits
; Kernel info:
; codeLenInByte = 1772
; TotalNumSgprs: 32
; NumVgprs: 43
; ScratchSize: 0
; MemoryBound: 0
; FloatMode: 240
; IeeeMode: 1
; LDSByteSize: 0 bytes/workgroup (compile time only)
; SGPRBlocks: 3
; VGPRBlocks: 10
; NumSGPRsForWavesPerEU: 32
; NumVGPRsForWavesPerEU: 43
; Occupancy: 5
; WaveLimiterHint : 1
; COMPUTE_PGM_RSRC2:SCRATCH_EN: 0
; COMPUTE_PGM_RSRC2:USER_SGPR: 6
; COMPUTE_PGM_RSRC2:TRAP_HANDLER: 0
; COMPUTE_PGM_RSRC2:TGID_X_EN: 1
; COMPUTE_PGM_RSRC2:TGID_Y_EN: 0
; COMPUTE_PGM_RSRC2:TGID_Z_EN: 0
; COMPUTE_PGM_RSRC2:TIDIG_COMP_CNT: 0
	.section	.text._Z16flag_sync_kernelILi5ELi1EEvP15transfer_data_tP16profiling_data_tm,"axG",@progbits,_Z16flag_sync_kernelILi5ELi1EEvP15transfer_data_tP16profiling_data_tm,comdat
	.protected	_Z16flag_sync_kernelILi5ELi1EEvP15transfer_data_tP16profiling_data_tm ; -- Begin function _Z16flag_sync_kernelILi5ELi1EEvP15transfer_data_tP16profiling_data_tm
	.globl	_Z16flag_sync_kernelILi5ELi1EEvP15transfer_data_tP16profiling_data_tm
	.p2align	8
	.type	_Z16flag_sync_kernelILi5ELi1EEvP15transfer_data_tP16profiling_data_tm,@function
_Z16flag_sync_kernelILi5ELi1EEvP15transfer_data_tP16profiling_data_tm: ; @_Z16flag_sync_kernelILi5ELi1EEvP15transfer_data_tP16profiling_data_tm
; %bb.0:
	s_mov_b64 s[26:27], s[2:3]
	s_mov_b64 s[24:25], s[0:1]
	s_load_dwordx4 s[8:11], s[4:5], 0x0
	s_load_dwordx2 s[2:3], s[4:5], 0x10
	s_add_u32 s24, s24, s7
	s_addc_u32 s25, s25, 0
	v_cmp_eq_u32_e64 s[0:1], 0, v0
	s_waitcnt lgkmcnt(0)
	s_load_dword s18, s[8:9], 0x8c0
	s_and_saveexec_b64 s[4:5], s[0:1]
	s_cbranch_execz .LBB12_10
; %bb.1:
	s_load_dword s12, s[8:9], 0x8c4
	s_load_dwordx2 s[16:17], s[8:9], 0x8d0
	s_mov_b64 s[14:15], src_private_base
	s_waitcnt lgkmcnt(0)
	s_ashr_i32 s13, s12, 31
	s_lshl_b64 s[12:13], s[12:13], 3
	s_add_u32 s12, s16, s12
	s_addc_u32 s13, s17, s13
	s_cmp_eq_u32 s13, s15
	s_cselect_b64 s[14:15], -1, 0
	s_andn2_b64 vcc, exec, s[14:15]
	s_mov_b64 s[14:15], -1
	s_cbranch_vccz .LBB12_3
; %bb.2:
	v_mov_b32_e32 v1, 1
	v_mov_b32_e32 v3, s12
	;; [unrolled: 1-line block ×4, first 2 shown]
	flat_atomic_add_x2 v[3:4], v[1:2]
	s_waitcnt vmcnt(0) lgkmcnt(0)
	buffer_wbinvl1_vol
	s_mov_b64 s[14:15], 0
.LBB12_3:
	s_andn2_b64 vcc, exec, s[14:15]
	s_cbranch_vccnz .LBB12_5
; %bb.4:
	s_cmp_lg_u64 s[12:13], 0
	s_cselect_b32 s7, s12, -1
	v_mov_b32_e32 v1, s7
	buffer_load_dword v2, v1, s[24:27], 0 offen
	buffer_load_dword v3, v1, s[24:27], 0 offen offset:4
	s_waitcnt vmcnt(1)
	v_add_co_u32_e32 v2, vcc, 1, v2
	s_waitcnt vmcnt(0)
	v_addc_co_u32_e32 v3, vcc, 0, v3, vcc
	buffer_store_dword v2, v1, s[24:27], 0 offen
	buffer_store_dword v3, v1, s[24:27], 0 offen offset:4
.LBB12_5:
	v_mov_b32_e32 v1, 0
	global_load_dword v2, v1, s[8:9] offset:2248
	s_waitcnt vmcnt(0)
	v_cmp_gt_i32_e32 vcc, 1, v2
	s_cbranch_vccnz .LBB12_10
; %bb.6:
	s_mov_b32 s13, 0
	s_mov_b32 s12, s13
.LBB12_7:                               ; =>This Loop Header: Depth=1
                                        ;     Child Loop BB12_8 Depth 2
	s_lshl_b64 s[16:17], s[12:13], 3
	s_mov_b64 s[14:15], 0
	v_mov_b32_e32 v2, s17
.LBB12_8:                               ;   Parent Loop BB12_7 Depth=1
                                        ; =>  This Inner Loop Header: Depth=2
	global_load_dwordx2 v[3:4], v1, s[8:9] offset:2256
	s_waitcnt vmcnt(0)
	v_add_co_u32_e32 v3, vcc, s16, v3
	v_addc_co_u32_e32 v4, vcc, v4, v2, vcc
	flat_load_dwordx2 v[3:4], v[3:4] glc
	s_waitcnt vmcnt(0) lgkmcnt(0)
	buffer_wbinvl1_vol
	v_cmp_le_u64_e32 vcc, s[2:3], v[3:4]
	s_or_b64 s[14:15], vcc, s[14:15]
	s_andn2_b64 exec, exec, s[14:15]
	s_cbranch_execnz .LBB12_8
; %bb.9:                                ;   in Loop: Header=BB12_7 Depth=1
	s_or_b64 exec, exec, s[14:15]
	global_load_dword v2, v1, s[8:9] offset:2248
	s_add_i32 s12, s12, 1
	s_waitcnt vmcnt(0)
	v_cmp_lt_i32_e32 vcc, s12, v2
	s_cbranch_vccnz .LBB12_7
.LBB12_10:
	s_or_b64 exec, exec, s[4:5]
	s_waitcnt lgkmcnt(0)
	s_barrier
                                        ; implicit-def: $sgpr12_sgpr13
	s_and_saveexec_b64 s[2:3], s[0:1]
; %bb.11:
	s_memrealtime s[12:13]
; %bb.12:
	s_or_b64 exec, exec, s[2:3]
	s_ashr_i32 s7, s6, 31
	s_cmp_lt_i32 s18, 1
	s_cbranch_scc1 .LBB12_34
; %bb.13:
	s_lshl_b64 s[2:3], s[6:7], 3
	s_add_u32 s2, s8, s2
	s_addc_u32 s3, s9, s3
	v_mov_b32_e32 v9, 0
	global_load_dwordx2 v[7:8], v9, s[2:3] offset:448
	global_load_dwordx2 v[5:6], v9, s[2:3] offset:1792
	;; [unrolled: 1-line block ×3, first 2 shown]
	global_load_dwordx2 v[3:4], v9, s[2:3]
	v_lshrrev_b32_e32 v10, 6, v0
	v_and_b32_e32 v11, 63, v0
	s_mov_b32 s4, 0
	s_waitcnt vmcnt(2)
	v_or_b32_e32 v9, v5, v7
	s_waitcnt vmcnt(0)
	v_or_b32_e32 v9, v9, v3
	v_or_b32_e32 v9, v9, v1
	v_and_b32_e32 v9, 3, v9
	v_cmp_eq_u32_e32 vcc, 0, v9
	v_lshl_or_b32 v9, v10, 8, v11
	s_cbranch_vccnz .LBB12_24
; %bb.14:
	v_lshl_or_b32 v10, v10, 8, v11
	s_mov_b64 s[8:9], -1
	s_cbranch_execnz .LBB12_25
.LBB12_15:
	s_lshr_b32 s2, s18, 2
	s_and_b32 s19, s2, 0x1fffff00
	v_cmp_gt_u32_e32 vcc, s19, v9
	s_and_saveexec_b64 s[14:15], vcc
	s_cbranch_execz .LBB12_18
; %bb.16:
	v_lshlrev_b32_e32 v16, 4, v9
	v_add_co_u32_e32 v10, vcc, v1, v16
	v_addc_co_u32_e32 v11, vcc, 0, v2, vcc
	v_add_co_u32_e32 v12, vcc, v3, v16
	v_addc_co_u32_e32 v13, vcc, 0, v4, vcc
	;; [unrolled: 2-line block ×4, first 2 shown]
	s_mov_b64 s[16:17], 0
	s_movk_i32 s20, 0x4000
	v_mov_b32_e32 v18, v9
.LBB12_17:                              ; =>This Inner Loop Header: Depth=1
	flat_load_dwordx4 v[19:22], v[14:15] glc slc
	flat_load_dwordx4 v[23:26], v[16:17] glc slc
	flat_load_dwordx4 v[27:30], v[16:17] offset:1024 glc slc
	flat_load_dwordx4 v[31:34], v[14:15] offset:1024 glc slc
	;; [unrolled: 1-line block ×3, first 2 shown]
	v_add_u32_e32 v18, 0x400, v18
	v_cmp_le_u32_e64 s[4:5], s19, v18
	s_or_b64 s[16:17], s[4:5], s[16:17]
	s_waitcnt vmcnt(0) lgkmcnt(0)
	v_add_f32_e32 v19, v23, v19
	v_add_f32_e32 v20, v24, v20
	v_add_f32_e32 v21, v25, v21
	v_add_f32_e32 v22, v26, v22
	flat_load_dwordx4 v[23:26], v[16:17] offset:2048 glc slc
	v_add_f32_e32 v27, v27, v31
	v_add_f32_e32 v28, v28, v32
	;; [unrolled: 1-line block ×4, first 2 shown]
	flat_load_dwordx4 v[31:34], v[16:17] offset:3072 glc slc
	flat_load_dwordx4 v[39:42], v[14:15] offset:3072 glc slc
	v_add_co_u32_e32 v16, vcc, s20, v16
	s_mov_b64 s[2:3], vcc
	v_add_co_u32_e32 v14, vcc, s20, v14
	v_addc_co_u32_e32 v15, vcc, 0, v15, vcc
	v_addc_co_u32_e64 v17, s[2:3], 0, v17, s[2:3]
	s_waitcnt vmcnt(0) lgkmcnt(0)
	v_add_f32_e32 v23, v23, v35
	v_add_f32_e32 v24, v24, v36
	;; [unrolled: 1-line block ×8, first 2 shown]
	flat_store_dwordx4 v[12:13], v[19:22] glc slc
	flat_store_dwordx4 v[12:13], v[27:30] offset:1024 glc slc
	flat_store_dwordx4 v[12:13], v[23:26] offset:2048 glc slc
	;; [unrolled: 1-line block ×3, first 2 shown]
	flat_store_dwordx4 v[10:11], v[19:22] glc slc
	flat_store_dwordx4 v[10:11], v[27:30] offset:1024 glc slc
	flat_store_dwordx4 v[10:11], v[23:26] offset:2048 glc slc
	;; [unrolled: 1-line block ×3, first 2 shown]
	v_add_co_u32_e32 v12, vcc, 0x4000, v12
	s_mov_b64 s[2:3], vcc
	v_add_co_u32_e32 v10, vcc, 0x4000, v10
	v_addc_co_u32_e64 v13, s[2:3], 0, v13, s[2:3]
	v_addc_co_u32_e32 v11, vcc, 0, v11, vcc
	s_andn2_b64 exec, exec, s[16:17]
	s_cbranch_execnz .LBB12_17
.LBB12_18:
	s_or_b64 exec, exec, s[14:15]
	s_lshl_b32 s4, s19, 2
	s_cmp_eq_u32 s18, s4
	s_cbranch_scc1 .LBB12_26
; %bb.19:
	s_sub_i32 s19, s18, s4
	s_ashr_i32 s20, s19, 2
	v_cmp_gt_i32_e32 vcc, s20, v0
	s_and_saveexec_b64 s[14:15], vcc
	s_cbranch_execz .LBB12_22
; %bb.20:
	s_mov_b32 s5, 0
	s_lshl_b64 s[2:3], s[4:5], 2
	v_mov_b32_e32 v16, s3
	v_add_co_u32_e32 v10, vcc, s2, v7
	v_addc_co_u32_e32 v11, vcc, v8, v16, vcc
	v_lshlrev_b32_e32 v17, 4, v0
	v_add_co_u32_e32 v10, vcc, v10, v17
	v_addc_co_u32_e32 v11, vcc, 0, v11, vcc
	v_add_co_u32_e32 v12, vcc, s2, v5
	v_addc_co_u32_e32 v13, vcc, v6, v16, vcc
	;; [unrolled: 2-line block ×7, first 2 shown]
	s_mov_b64 s[16:17], 0
	s_movk_i32 s5, 0x1000
	v_mov_b32_e32 v18, v0
.LBB12_21:                              ; =>This Inner Loop Header: Depth=1
	flat_load_dwordx4 v[19:22], v[10:11] glc slc
	flat_load_dwordx4 v[23:26], v[12:13] glc slc
	v_add_co_u32_e32 v10, vcc, s5, v10
	v_addc_co_u32_e32 v11, vcc, 0, v11, vcc
	v_add_co_u32_e32 v12, vcc, s5, v12
	v_addc_co_u32_e32 v13, vcc, 0, v13, vcc
	v_add_u32_e32 v18, 0x100, v18
	v_cmp_le_i32_e64 s[2:3], s20, v18
	s_or_b64 s[16:17], s[2:3], s[16:17]
	s_waitcnt vmcnt(0) lgkmcnt(0)
	v_add_f32_e32 v19, v19, v23
	v_add_f32_e32 v20, v20, v24
	;; [unrolled: 1-line block ×4, first 2 shown]
	flat_store_dwordx4 v[14:15], v[19:22]
	flat_store_dwordx4 v[16:17], v[19:22]
	v_add_co_u32_e32 v14, vcc, 0x1000, v14
	v_addc_co_u32_e32 v15, vcc, 0, v15, vcc
	v_add_co_u32_e32 v16, vcc, 0x1000, v16
	v_addc_co_u32_e32 v17, vcc, 0, v17, vcc
	s_andn2_b64 exec, exec, s[16:17]
	s_cbranch_execnz .LBB12_21
.LBB12_22:
	s_or_b64 exec, exec, s[14:15]
	s_and_b32 s16, s18, 3
	s_cmp_eq_u32 s16, 0
	s_cbranch_scc1 .LBB12_27
; %bb.23:
	s_and_b32 s2, s19, -4
	s_add_i32 s4, s2, s4
	s_cbranch_execnz .LBB12_28
	s_branch .LBB12_34
.LBB12_24:
	s_mov_b64 s[8:9], 0
                                        ; implicit-def: $vgpr10
	s_branch .LBB12_15
.LBB12_25:
	s_mov_b32 s16, s18
	v_mov_b32_e32 v9, v10
	s_and_b64 vcc, exec, s[8:9]
	s_cbranch_vccnz .LBB12_28
	s_branch .LBB12_34
.LBB12_26:
                                        ; implicit-def: $sgpr16
.LBB12_27:
                                        ; implicit-def: $sgpr4
	s_and_b64 vcc, exec, s[8:9]
	s_cbranch_vccz .LBB12_34
.LBB12_28:
	s_and_b32 s17, s16, 0x7fffff00
	v_cmp_gt_u32_e32 vcc, s17, v9
	s_and_saveexec_b64 s[8:9], vcc
	s_cbranch_execz .LBB12_31
; %bb.29:
	s_ashr_i32 s5, s4, 31
	s_lshl_b64 s[2:3], s[4:5], 2
	v_mov_b32_e32 v10, 0
	v_mov_b32_e32 v18, s3
	v_add_co_u32_e32 v11, vcc, s2, v7
	v_lshlrev_b64 v[16:17], 2, v[9:10]
	v_addc_co_u32_e32 v12, vcc, v8, v18, vcc
	v_add_co_u32_e32 v10, vcc, v11, v16
	v_addc_co_u32_e32 v11, vcc, v12, v17, vcc
	v_add_co_u32_e32 v12, vcc, s2, v5
	;; [unrolled: 2-line block ×7, first 2 shown]
	v_addc_co_u32_e32 v17, vcc, v18, v17, vcc
	s_mov_b64 s[14:15], 0
	s_movk_i32 s5, 0x1000
.LBB12_30:                              ; =>This Inner Loop Header: Depth=1
	flat_load_dword v18, v[10:11] glc slc
	flat_load_dword v19, v[10:11] offset:256 glc slc
	flat_load_dword v20, v[10:11] offset:512 glc slc
	;; [unrolled: 1-line block ×3, first 2 shown]
	flat_load_dword v22, v[12:13] glc slc
	flat_load_dword v23, v[12:13] offset:256 glc slc
	flat_load_dword v24, v[12:13] offset:512 glc slc
	;; [unrolled: 1-line block ×3, first 2 shown]
	v_add_co_u32_e32 v10, vcc, s5, v10
	v_addc_co_u32_e32 v11, vcc, 0, v11, vcc
	v_add_co_u32_e32 v12, vcc, s5, v12
	v_addc_co_u32_e32 v13, vcc, 0, v13, vcc
	v_add_u32_e32 v9, 0x400, v9
	v_cmp_le_u32_e64 s[2:3], s17, v9
	s_or_b64 s[14:15], s[2:3], s[14:15]
	s_waitcnt vmcnt(0) lgkmcnt(0)
	v_add_f32_e32 v18, v18, v22
	v_add_f32_e32 v19, v19, v23
	v_add_f32_e32 v20, v20, v24
	v_add_f32_e32 v21, v21, v25
	flat_store_dword v[14:15], v18 glc slc
	flat_store_dword v[14:15], v19 offset:256 glc slc
	flat_store_dword v[14:15], v20 offset:512 glc slc
	;; [unrolled: 1-line block ×3, first 2 shown]
	flat_store_dword v[16:17], v18 glc slc
	flat_store_dword v[16:17], v19 offset:256 glc slc
	flat_store_dword v[16:17], v20 offset:512 glc slc
	;; [unrolled: 1-line block ×3, first 2 shown]
	v_add_co_u32_e32 v14, vcc, 0x1000, v14
	v_addc_co_u32_e32 v15, vcc, 0, v15, vcc
	v_add_co_u32_e32 v16, vcc, 0x1000, v16
	v_addc_co_u32_e32 v17, vcc, 0, v17, vcc
	s_andn2_b64 exec, exec, s[14:15]
	s_cbranch_execnz .LBB12_30
.LBB12_31:
	s_or_b64 exec, exec, s[8:9]
	s_and_b32 s5, s16, 0xff
	s_cmp_lg_u32 s5, 0
	s_cselect_b64 s[2:3], -1, 0
	v_cmp_gt_u32_e32 vcc, s5, v0
	s_and_b64 s[8:9], s[2:3], vcc
	s_and_saveexec_b64 s[2:3], s[8:9]
	s_cbranch_execz .LBB12_33
; %bb.32:
	s_add_i32 s4, s17, s4
	s_ashr_i32 s5, s4, 31
	s_lshl_b64 s[4:5], s[4:5], 2
	v_mov_b32_e32 v9, s5
	v_add_co_u32_e32 v7, vcc, s4, v7
	v_addc_co_u32_e32 v8, vcc, v8, v9, vcc
	v_lshlrev_b32_e32 v10, 2, v0
	v_add_co_u32_e32 v7, vcc, v7, v10
	v_addc_co_u32_e32 v8, vcc, 0, v8, vcc
	v_add_co_u32_e32 v0, vcc, s4, v5
	v_addc_co_u32_e32 v6, vcc, v6, v9, vcc
	;; [unrolled: 2-line block ×3, first 2 shown]
	flat_load_dword v11, v[7:8] glc slc
	flat_load_dword v12, v[5:6] glc slc
	v_add_co_u32_e32 v0, vcc, s4, v3
	v_addc_co_u32_e32 v3, vcc, v4, v9, vcc
	v_add_co_u32_e32 v4, vcc, s4, v1
	v_addc_co_u32_e32 v5, vcc, v2, v9, vcc
	;; [unrolled: 2-line block ×4, first 2 shown]
	s_waitcnt vmcnt(0) lgkmcnt(0)
	v_add_f32_e32 v4, v11, v12
	flat_store_dword v[0:1], v4 glc slc
	flat_store_dword v[2:3], v4 glc slc
.LBB12_33:
	s_or_b64 exec, exec, s[2:3]
.LBB12_34:
	s_waitcnt vmcnt(0) lgkmcnt(0)
	s_barrier
	s_and_saveexec_b64 s[2:3], s[0:1]
	s_cbranch_execz .LBB12_39
; %bb.35:
	s_lshl_b64 s[0:1], s[6:7], 3
	s_memrealtime s[6:7]
	s_mov_b64 s[4:5], exec
	v_mbcnt_lo_u32_b32 v0, s4, 0
	s_add_u32 s0, s10, s0
	v_mbcnt_hi_u32_b32 v0, s5, v0
	s_addc_u32 s1, s11, s1
	v_cmp_eq_u32_e32 vcc, 0, v0
	s_and_saveexec_b64 s[2:3], vcc
	s_cbranch_execz .LBB12_37
; %bb.36:
	s_waitcnt lgkmcnt(0)
	s_sub_u32 s6, s6, s12
	s_subb_u32 s7, s7, s13
	s_bcnt1_i32_b64 s4, s[4:5]
	s_mul_i32 s7, s7, s4
	s_mul_hi_u32 s5, s6, s4
	s_add_i32 s5, s5, s7
	s_mul_i32 s6, s6, s4
	v_mov_b32_e32 v0, s6
	v_mov_b32_e32 v1, s5
	;; [unrolled: 1-line block ×3, first 2 shown]
	global_atomic_add_x2 v2, v[0:1], s[0:1]
	s_waitcnt vmcnt(0)
	buffer_wbinvl1_vol
.LBB12_37:
	s_or_b64 exec, exec, s[2:3]
	s_mov_b64 s[2:3], exec
	v_mbcnt_lo_u32_b32 v0, s2, 0
	v_mbcnt_hi_u32_b32 v0, s3, v0
	v_cmp_eq_u32_e32 vcc, 0, v0
	s_and_b64 s[4:5], exec, vcc
	s_mov_b64 exec, s[4:5]
	s_cbranch_execz .LBB12_39
; %bb.38:
	s_bcnt1_i32_b64 s2, s[2:3]
	s_mul_hi_i32 s3, s18, s2
	s_mul_i32 s2, s18, s2
	s_lshl_b64 s[2:3], s[2:3], 2
	v_mov_b32_e32 v0, s2
	v_mov_b32_e32 v2, 0
	;; [unrolled: 1-line block ×3, first 2 shown]
	s_waitcnt lgkmcnt(0)
	global_atomic_add_x2 v2, v[0:1], s[0:1] offset:448
	s_waitcnt vmcnt(0)
	buffer_wbinvl1_vol
.LBB12_39:
	s_endpgm
	.section	.rodata,"a",@progbits
	.p2align	6, 0x0
	.amdhsa_kernel _Z16flag_sync_kernelILi5ELi1EEvP15transfer_data_tP16profiling_data_tm
		.amdhsa_group_segment_fixed_size 0
		.amdhsa_private_segment_fixed_size 0
		.amdhsa_kernarg_size 24
		.amdhsa_user_sgpr_count 6
		.amdhsa_user_sgpr_private_segment_buffer 1
		.amdhsa_user_sgpr_dispatch_ptr 0
		.amdhsa_user_sgpr_queue_ptr 0
		.amdhsa_user_sgpr_kernarg_segment_ptr 1
		.amdhsa_user_sgpr_dispatch_id 0
		.amdhsa_user_sgpr_flat_scratch_init 0
		.amdhsa_user_sgpr_private_segment_size 0
		.amdhsa_uses_dynamic_stack 0
		.amdhsa_system_sgpr_private_segment_wavefront_offset 0
		.amdhsa_system_sgpr_workgroup_id_x 1
		.amdhsa_system_sgpr_workgroup_id_y 0
		.amdhsa_system_sgpr_workgroup_id_z 0
		.amdhsa_system_sgpr_workgroup_info 0
		.amdhsa_system_vgpr_workitem_id 0
		.amdhsa_next_free_vgpr 43
		.amdhsa_next_free_sgpr 28
		.amdhsa_reserve_vcc 1
		.amdhsa_reserve_flat_scratch 0
		.amdhsa_float_round_mode_32 0
		.amdhsa_float_round_mode_16_64 0
		.amdhsa_float_denorm_mode_32 3
		.amdhsa_float_denorm_mode_16_64 3
		.amdhsa_dx10_clamp 1
		.amdhsa_ieee_mode 1
		.amdhsa_fp16_overflow 0
		.amdhsa_exception_fp_ieee_invalid_op 0
		.amdhsa_exception_fp_denorm_src 0
		.amdhsa_exception_fp_ieee_div_zero 0
		.amdhsa_exception_fp_ieee_overflow 0
		.amdhsa_exception_fp_ieee_underflow 0
		.amdhsa_exception_fp_ieee_inexact 0
		.amdhsa_exception_int_div_zero 0
	.end_amdhsa_kernel
	.section	.text._Z16flag_sync_kernelILi5ELi1EEvP15transfer_data_tP16profiling_data_tm,"axG",@progbits,_Z16flag_sync_kernelILi5ELi1EEvP15transfer_data_tP16profiling_data_tm,comdat
.Lfunc_end12:
	.size	_Z16flag_sync_kernelILi5ELi1EEvP15transfer_data_tP16profiling_data_tm, .Lfunc_end12-_Z16flag_sync_kernelILi5ELi1EEvP15transfer_data_tP16profiling_data_tm
                                        ; -- End function
	.set _Z16flag_sync_kernelILi5ELi1EEvP15transfer_data_tP16profiling_data_tm.num_vgpr, 43
	.set _Z16flag_sync_kernelILi5ELi1EEvP15transfer_data_tP16profiling_data_tm.num_agpr, 0
	.set _Z16flag_sync_kernelILi5ELi1EEvP15transfer_data_tP16profiling_data_tm.numbered_sgpr, 28
	.set _Z16flag_sync_kernelILi5ELi1EEvP15transfer_data_tP16profiling_data_tm.num_named_barrier, 0
	.set _Z16flag_sync_kernelILi5ELi1EEvP15transfer_data_tP16profiling_data_tm.private_seg_size, 0
	.set _Z16flag_sync_kernelILi5ELi1EEvP15transfer_data_tP16profiling_data_tm.uses_vcc, 1
	.set _Z16flag_sync_kernelILi5ELi1EEvP15transfer_data_tP16profiling_data_tm.uses_flat_scratch, 0
	.set _Z16flag_sync_kernelILi5ELi1EEvP15transfer_data_tP16profiling_data_tm.has_dyn_sized_stack, 0
	.set _Z16flag_sync_kernelILi5ELi1EEvP15transfer_data_tP16profiling_data_tm.has_recursion, 0
	.set _Z16flag_sync_kernelILi5ELi1EEvP15transfer_data_tP16profiling_data_tm.has_indirect_call, 0
	.section	.AMDGPU.csdata,"",@progbits
; Kernel info:
; codeLenInByte = 1908
; TotalNumSgprs: 32
; NumVgprs: 43
; ScratchSize: 0
; MemoryBound: 0
; FloatMode: 240
; IeeeMode: 1
; LDSByteSize: 0 bytes/workgroup (compile time only)
; SGPRBlocks: 3
; VGPRBlocks: 10
; NumSGPRsForWavesPerEU: 32
; NumVGPRsForWavesPerEU: 43
; Occupancy: 5
; WaveLimiterHint : 1
; COMPUTE_PGM_RSRC2:SCRATCH_EN: 0
; COMPUTE_PGM_RSRC2:USER_SGPR: 6
; COMPUTE_PGM_RSRC2:TRAP_HANDLER: 0
; COMPUTE_PGM_RSRC2:TGID_X_EN: 1
; COMPUTE_PGM_RSRC2:TGID_Y_EN: 0
; COMPUTE_PGM_RSRC2:TGID_Z_EN: 0
; COMPUTE_PGM_RSRC2:TIDIG_COMP_CNT: 0
	.section	.text._Z16flag_sync_kernelILi6ELi0EEvP15transfer_data_tP16profiling_data_tm,"axG",@progbits,_Z16flag_sync_kernelILi6ELi0EEvP15transfer_data_tP16profiling_data_tm,comdat
	.protected	_Z16flag_sync_kernelILi6ELi0EEvP15transfer_data_tP16profiling_data_tm ; -- Begin function _Z16flag_sync_kernelILi6ELi0EEvP15transfer_data_tP16profiling_data_tm
	.globl	_Z16flag_sync_kernelILi6ELi0EEvP15transfer_data_tP16profiling_data_tm
	.p2align	8
	.type	_Z16flag_sync_kernelILi6ELi0EEvP15transfer_data_tP16profiling_data_tm,@function
_Z16flag_sync_kernelILi6ELi0EEvP15transfer_data_tP16profiling_data_tm: ; @_Z16flag_sync_kernelILi6ELi0EEvP15transfer_data_tP16profiling_data_tm
; %bb.0:
	s_load_dwordx4 s[8:11], s[4:5], 0x0
	s_mov_b64 s[26:27], s[2:3]
	s_mov_b64 s[24:25], s[0:1]
	s_add_u32 s24, s24, s7
	s_addc_u32 s25, s25, 0
	s_waitcnt lgkmcnt(0)
	s_load_dword s18, s[8:9], 0x8c0
	v_cmp_eq_u32_e64 s[0:1], 0, v0
	s_and_saveexec_b64 s[2:3], s[0:1]
	s_cbranch_execz .LBB13_5
; %bb.1:
	s_load_dword s4, s[8:9], 0x8c4
	s_load_dwordx2 s[14:15], s[8:9], 0x8d0
	s_mov_b64 s[12:13], src_private_base
	s_waitcnt lgkmcnt(0)
	s_ashr_i32 s5, s4, 31
	s_lshl_b64 s[4:5], s[4:5], 3
	s_add_u32 s4, s14, s4
	s_addc_u32 s5, s15, s5
	s_cmp_eq_u32 s5, s13
	s_cselect_b64 s[12:13], -1, 0
	s_andn2_b64 vcc, exec, s[12:13]
	s_mov_b64 s[12:13], -1
	s_cbranch_vccz .LBB13_3
; %bb.2:
	v_mov_b32_e32 v1, 1
	v_mov_b32_e32 v3, s4
	;; [unrolled: 1-line block ×4, first 2 shown]
	flat_atomic_add_x2 v[3:4], v[1:2]
	s_waitcnt vmcnt(0) lgkmcnt(0)
	buffer_wbinvl1_vol
	s_mov_b64 s[12:13], 0
.LBB13_3:
	s_andn2_b64 vcc, exec, s[12:13]
	s_cbranch_vccnz .LBB13_5
; %bb.4:
	s_cmp_lg_u64 s[4:5], 0
	s_cselect_b32 s4, s4, -1
	v_mov_b32_e32 v1, s4
	buffer_load_dword v2, v1, s[24:27], 0 offen
	buffer_load_dword v3, v1, s[24:27], 0 offen offset:4
	s_waitcnt vmcnt(1)
	v_add_co_u32_e32 v2, vcc, 1, v2
	s_waitcnt vmcnt(0)
	v_addc_co_u32_e32 v3, vcc, 0, v3, vcc
	buffer_store_dword v2, v1, s[24:27], 0 offen
	buffer_store_dword v3, v1, s[24:27], 0 offen offset:4
.LBB13_5:
	s_or_b64 exec, exec, s[2:3]
	s_waitcnt vmcnt(0) lgkmcnt(0)
	s_barrier
                                        ; implicit-def: $sgpr12_sgpr13
	s_and_saveexec_b64 s[2:3], s[0:1]
; %bb.6:
	s_memrealtime s[12:13]
; %bb.7:
	s_or_b64 exec, exec, s[2:3]
	s_ashr_i32 s7, s6, 31
	s_cmp_lt_i32 s18, 1
	s_cbranch_scc1 .LBB13_30
; %bb.8:
	s_lshl_b64 s[2:3], s[6:7], 3
	s_add_u32 s2, s8, s2
	s_addc_u32 s3, s9, s3
	v_mov_b32_e32 v5, 0
	global_load_dwordx2 v[1:2], v5, s[2:3]
	global_load_dwordx2 v[3:4], v5, s[2:3] offset:448
	v_lshrrev_b32_e32 v6, 6, v0
	v_and_b32_e32 v7, 63, v0
	s_mov_b32 s2, 0
	s_waitcnt vmcnt(0)
	v_or_b32_e32 v5, v3, v1
	v_and_b32_e32 v5, 3, v5
	v_cmp_eq_u32_e32 vcc, 0, v5
	v_lshl_or_b32 v5, v6, 9, v7
	s_cbranch_vccnz .LBB13_19
; %bb.9:
	v_lshl_or_b32 v6, v6, 9, v7
	s_mov_b64 s[8:9], -1
	s_cbranch_execnz .LBB13_20
.LBB13_10:
	s_lshr_b32 s2, s18, 2
	s_and_b32 s19, s2, 0x1ffffe00
	v_cmp_gt_u32_e32 vcc, s19, v5
	s_and_saveexec_b64 s[14:15], vcc
	s_cbranch_execz .LBB13_13
; %bb.11:
	v_lshlrev_b32_e32 v8, 4, v5
	v_add_co_u32_e32 v6, vcc, v3, v8
	v_addc_co_u32_e32 v7, vcc, 0, v4, vcc
	v_add_co_u32_e32 v8, vcc, v1, v8
	v_addc_co_u32_e32 v9, vcc, 0, v2, vcc
	s_mov_b64 s[16:17], 0
	s_movk_i32 s20, 0x1000
	v_mov_b32_e32 v10, v5
.LBB13_12:                              ; =>This Inner Loop Header: Depth=1
	v_add_co_u32_e32 v39, vcc, 0x1000, v8
	s_mov_b64 s[2:3], vcc
	flat_load_dwordx4 v[11:14], v[8:9] glc slc
	flat_load_dwordx4 v[15:18], v[8:9] offset:1024 glc slc
	flat_load_dwordx4 v[19:22], v[8:9] offset:2048 glc slc
	;; [unrolled: 1-line block ×3, first 2 shown]
	v_mov_b32_e32 v27, v39
	v_addc_co_u32_e64 v28, s[2:3], 0, v9, s[2:3]
	v_addc_co_u32_e32 v40, vcc, 0, v9, vcc
	flat_load_dwordx4 v[27:30], v[27:28] glc slc
	s_nop 0
	flat_load_dwordx4 v[31:34], v[39:40] offset:1024 glc slc
	flat_load_dwordx4 v[35:38], v[39:40] offset:2048 glc slc
	s_nop 0
	flat_load_dwordx4 v[39:42], v[39:40] offset:3072 glc slc
	v_add_co_u32_e32 v43, vcc, s20, v6
	s_mov_b64 s[2:3], vcc
	v_add_co_u32_e32 v8, vcc, 0x8000, v8
	v_add_u32_e32 v10, 0x800, v10
	v_addc_co_u32_e32 v9, vcc, 0, v9, vcc
	v_cmp_le_u32_e64 s[4:5], s19, v10
	s_or_b64 s[16:17], s[4:5], s[16:17]
	v_addc_co_u32_e64 v44, s[2:3], 0, v7, s[2:3]
	s_waitcnt vmcnt(0) lgkmcnt(0)
	flat_store_dwordx4 v[6:7], v[11:14] glc slc
	flat_store_dwordx4 v[6:7], v[15:18] offset:1024 glc slc
	flat_store_dwordx4 v[6:7], v[19:22] offset:2048 glc slc
	;; [unrolled: 1-line block ×3, first 2 shown]
	v_add_co_u32_e32 v6, vcc, 0x8000, v6
	v_addc_co_u32_e32 v7, vcc, 0, v7, vcc
	flat_store_dwordx4 v[43:44], v[27:30] glc slc
	flat_store_dwordx4 v[43:44], v[31:34] offset:1024 glc slc
	flat_store_dwordx4 v[43:44], v[35:38] offset:2048 glc slc
	;; [unrolled: 1-line block ×3, first 2 shown]
	s_andn2_b64 exec, exec, s[16:17]
	s_cbranch_execnz .LBB13_12
.LBB13_13:
	s_or_b64 exec, exec, s[14:15]
	s_lshl_b32 s2, s19, 2
	s_cmp_eq_u32 s18, s2
	s_cbranch_scc1 .LBB13_21
; %bb.14:
	s_sub_i32 s16, s18, s2
	s_ashr_i32 s17, s16, 2
	v_cmp_gt_i32_e32 vcc, s17, v0
	s_and_saveexec_b64 s[4:5], vcc
	s_cbranch_execz .LBB13_17
; %bb.15:
	s_mov_b32 s3, 0
	s_lshl_b64 s[14:15], s[2:3], 2
	v_mov_b32_e32 v8, s15
	v_add_co_u32_e32 v6, vcc, s14, v3
	v_addc_co_u32_e32 v7, vcc, v4, v8, vcc
	v_lshlrev_b32_e32 v9, 4, v0
	v_add_co_u32_e32 v6, vcc, v6, v9
	v_addc_co_u32_e32 v7, vcc, 0, v7, vcc
	v_add_co_u32_e32 v10, vcc, s14, v1
	v_addc_co_u32_e32 v11, vcc, v2, v8, vcc
	;; [unrolled: 2-line block ×3, first 2 shown]
	s_mov_b64 s[14:15], 0
	v_mov_b32_e32 v10, v0
.LBB13_16:                              ; =>This Inner Loop Header: Depth=1
	flat_load_dwordx4 v[11:14], v[8:9] glc slc
	v_add_co_u32_e32 v8, vcc, 0x1000, v8
	v_add_u32_e32 v10, 0x100, v10
	v_addc_co_u32_e32 v9, vcc, 0, v9, vcc
	v_cmp_le_i32_e32 vcc, s17, v10
	s_or_b64 s[14:15], vcc, s[14:15]
	s_waitcnt vmcnt(0) lgkmcnt(0)
	flat_store_dwordx4 v[6:7], v[11:14]
	v_add_co_u32_e32 v6, vcc, 0x1000, v6
	v_addc_co_u32_e32 v7, vcc, 0, v7, vcc
	s_andn2_b64 exec, exec, s[14:15]
	s_cbranch_execnz .LBB13_16
.LBB13_17:
	s_or_b64 exec, exec, s[4:5]
	s_and_b32 s14, s18, 3
	s_cmp_eq_u32 s14, 0
	s_cbranch_scc1 .LBB13_22
; %bb.18:
	s_and_b32 s3, s16, -4
	s_add_i32 s2, s3, s2
	s_cbranch_execnz .LBB13_23
	s_branch .LBB13_30
.LBB13_19:
	s_mov_b64 s[8:9], 0
                                        ; implicit-def: $vgpr6
	s_branch .LBB13_10
.LBB13_20:
	s_mov_b32 s14, s18
	v_mov_b32_e32 v5, v6
	s_and_b64 vcc, exec, s[8:9]
	s_cbranch_vccnz .LBB13_23
	s_branch .LBB13_30
.LBB13_21:
                                        ; implicit-def: $sgpr14
.LBB13_22:
                                        ; implicit-def: $sgpr2
	s_and_b64 vcc, exec, s[8:9]
	s_cbranch_vccz .LBB13_30
.LBB13_23:
	s_and_b32 s15, s14, 0x7ffffe00
	v_cmp_gt_u32_e32 vcc, s15, v5
	s_and_saveexec_b64 s[4:5], vcc
	s_cbranch_execz .LBB13_26
; %bb.24:
	s_ashr_i32 s3, s2, 31
	s_lshl_b64 s[8:9], s[2:3], 2
	v_mov_b32_e32 v6, 0
	v_mov_b32_e32 v10, s9
	v_add_co_u32_e32 v7, vcc, s8, v3
	v_lshlrev_b64 v[8:9], 2, v[5:6]
	v_addc_co_u32_e32 v11, vcc, v4, v10, vcc
	v_add_co_u32_e32 v6, vcc, v7, v8
	v_addc_co_u32_e32 v7, vcc, v11, v9, vcc
	v_add_co_u32_e32 v11, vcc, s8, v1
	;; [unrolled: 2-line block ×3, first 2 shown]
	v_addc_co_u32_e32 v9, vcc, v10, v9, vcc
	s_mov_b64 s[8:9], 0
.LBB13_25:                              ; =>This Inner Loop Header: Depth=1
	flat_load_dword v10, v[8:9] glc slc
	flat_load_dword v11, v[8:9] offset:256 glc slc
	flat_load_dword v12, v[8:9] offset:512 glc slc
	;; [unrolled: 1-line block ×7, first 2 shown]
	v_add_co_u32_e32 v8, vcc, 0x2000, v8
	v_add_u32_e32 v5, 0x800, v5
	v_addc_co_u32_e32 v9, vcc, 0, v9, vcc
	v_cmp_le_u32_e32 vcc, s15, v5
	s_or_b64 s[8:9], vcc, s[8:9]
	s_waitcnt vmcnt(0) lgkmcnt(0)
	flat_store_dword v[6:7], v10 glc slc
	flat_store_dword v[6:7], v11 offset:256 glc slc
	flat_store_dword v[6:7], v12 offset:512 glc slc
	flat_store_dword v[6:7], v13 offset:768 glc slc
	flat_store_dword v[6:7], v14 offset:1024 glc slc
	flat_store_dword v[6:7], v15 offset:1280 glc slc
	flat_store_dword v[6:7], v16 offset:1536 glc slc
	flat_store_dword v[6:7], v17 offset:1792 glc slc
	v_add_co_u32_e32 v6, vcc, 0x2000, v6
	v_addc_co_u32_e32 v7, vcc, 0, v7, vcc
	s_andn2_b64 exec, exec, s[8:9]
	s_cbranch_execnz .LBB13_25
.LBB13_26:
	s_or_b64 exec, exec, s[4:5]
	s_and_b32 s8, s14, 0x1ff
	s_cmp_lg_u32 s8, 0
	s_cselect_b64 s[4:5], -1, 0
	v_cmp_gt_u32_e32 vcc, s8, v0
	s_and_b64 s[16:17], s[4:5], vcc
	s_and_saveexec_b64 s[4:5], s[16:17]
	s_cbranch_execz .LBB13_29
; %bb.27:
	s_add_i32 s2, s15, s2
	s_ashr_i32 s3, s2, 31
	s_lshl_b64 s[2:3], s[2:3], 2
	v_mov_b32_e32 v5, s3
	v_add_co_u32_e32 v3, vcc, s2, v3
	v_addc_co_u32_e32 v4, vcc, v4, v5, vcc
	v_lshlrev_b32_e32 v6, 2, v0
	v_add_co_u32_e32 v3, vcc, v3, v6
	v_addc_co_u32_e32 v4, vcc, 0, v4, vcc
	v_add_co_u32_e32 v1, vcc, s2, v1
	v_addc_co_u32_e32 v2, vcc, v2, v5, vcc
	;; [unrolled: 2-line block ×3, first 2 shown]
	s_mov_b64 s[2:3], 0
.LBB13_28:                              ; =>This Inner Loop Header: Depth=1
	flat_load_dword v5, v[1:2] glc slc
	v_add_co_u32_e32 v1, vcc, 0x400, v1
	v_add_u32_e32 v0, 0x100, v0
	v_addc_co_u32_e32 v2, vcc, 0, v2, vcc
	v_cmp_le_u32_e32 vcc, s8, v0
	s_or_b64 s[2:3], vcc, s[2:3]
	s_waitcnt vmcnt(0) lgkmcnt(0)
	flat_store_dword v[3:4], v5 glc slc
	v_add_co_u32_e32 v3, vcc, 0x400, v3
	v_addc_co_u32_e32 v4, vcc, 0, v4, vcc
	s_andn2_b64 exec, exec, s[2:3]
	s_cbranch_execnz .LBB13_28
.LBB13_29:
	s_or_b64 exec, exec, s[4:5]
.LBB13_30:
	s_waitcnt vmcnt(0) lgkmcnt(0)
	s_barrier
	s_and_saveexec_b64 s[2:3], s[0:1]
	s_cbranch_execz .LBB13_35
; %bb.31:
	s_lshl_b64 s[0:1], s[6:7], 3
	s_memrealtime s[6:7]
	s_mov_b64 s[4:5], exec
	v_mbcnt_lo_u32_b32 v0, s4, 0
	s_add_u32 s0, s10, s0
	v_mbcnt_hi_u32_b32 v0, s5, v0
	s_addc_u32 s1, s11, s1
	v_cmp_eq_u32_e32 vcc, 0, v0
	s_and_saveexec_b64 s[2:3], vcc
	s_cbranch_execz .LBB13_33
; %bb.32:
	s_waitcnt lgkmcnt(0)
	s_sub_u32 s6, s6, s12
	s_subb_u32 s7, s7, s13
	s_bcnt1_i32_b64 s4, s[4:5]
	s_mul_i32 s7, s7, s4
	s_mul_hi_u32 s5, s6, s4
	s_add_i32 s5, s5, s7
	s_mul_i32 s6, s6, s4
	v_mov_b32_e32 v0, s6
	v_mov_b32_e32 v1, s5
	;; [unrolled: 1-line block ×3, first 2 shown]
	global_atomic_add_x2 v2, v[0:1], s[0:1]
	s_waitcnt vmcnt(0)
	buffer_wbinvl1_vol
.LBB13_33:
	s_or_b64 exec, exec, s[2:3]
	s_mov_b64 s[2:3], exec
	v_mbcnt_lo_u32_b32 v0, s2, 0
	v_mbcnt_hi_u32_b32 v0, s3, v0
	v_cmp_eq_u32_e32 vcc, 0, v0
	s_and_b64 s[4:5], exec, vcc
	s_mov_b64 exec, s[4:5]
	s_cbranch_execz .LBB13_35
; %bb.34:
	s_bcnt1_i32_b64 s2, s[2:3]
	s_mul_hi_i32 s3, s18, s2
	s_mul_i32 s2, s18, s2
	s_lshl_b64 s[2:3], s[2:3], 2
	v_mov_b32_e32 v0, s2
	v_mov_b32_e32 v2, 0
	;; [unrolled: 1-line block ×3, first 2 shown]
	s_waitcnt lgkmcnt(0)
	global_atomic_add_x2 v2, v[0:1], s[0:1] offset:448
	s_waitcnt vmcnt(0)
	buffer_wbinvl1_vol
.LBB13_35:
	s_endpgm
	.section	.rodata,"a",@progbits
	.p2align	6, 0x0
	.amdhsa_kernel _Z16flag_sync_kernelILi6ELi0EEvP15transfer_data_tP16profiling_data_tm
		.amdhsa_group_segment_fixed_size 0
		.amdhsa_private_segment_fixed_size 0
		.amdhsa_kernarg_size 24
		.amdhsa_user_sgpr_count 6
		.amdhsa_user_sgpr_private_segment_buffer 1
		.amdhsa_user_sgpr_dispatch_ptr 0
		.amdhsa_user_sgpr_queue_ptr 0
		.amdhsa_user_sgpr_kernarg_segment_ptr 1
		.amdhsa_user_sgpr_dispatch_id 0
		.amdhsa_user_sgpr_flat_scratch_init 0
		.amdhsa_user_sgpr_private_segment_size 0
		.amdhsa_uses_dynamic_stack 0
		.amdhsa_system_sgpr_private_segment_wavefront_offset 0
		.amdhsa_system_sgpr_workgroup_id_x 1
		.amdhsa_system_sgpr_workgroup_id_y 0
		.amdhsa_system_sgpr_workgroup_id_z 0
		.amdhsa_system_sgpr_workgroup_info 0
		.amdhsa_system_vgpr_workitem_id 0
		.amdhsa_next_free_vgpr 45
		.amdhsa_next_free_sgpr 28
		.amdhsa_reserve_vcc 1
		.amdhsa_reserve_flat_scratch 0
		.amdhsa_float_round_mode_32 0
		.amdhsa_float_round_mode_16_64 0
		.amdhsa_float_denorm_mode_32 3
		.amdhsa_float_denorm_mode_16_64 3
		.amdhsa_dx10_clamp 1
		.amdhsa_ieee_mode 1
		.amdhsa_fp16_overflow 0
		.amdhsa_exception_fp_ieee_invalid_op 0
		.amdhsa_exception_fp_denorm_src 0
		.amdhsa_exception_fp_ieee_div_zero 0
		.amdhsa_exception_fp_ieee_overflow 0
		.amdhsa_exception_fp_ieee_underflow 0
		.amdhsa_exception_fp_ieee_inexact 0
		.amdhsa_exception_int_div_zero 0
	.end_amdhsa_kernel
	.section	.text._Z16flag_sync_kernelILi6ELi0EEvP15transfer_data_tP16profiling_data_tm,"axG",@progbits,_Z16flag_sync_kernelILi6ELi0EEvP15transfer_data_tP16profiling_data_tm,comdat
.Lfunc_end13:
	.size	_Z16flag_sync_kernelILi6ELi0EEvP15transfer_data_tP16profiling_data_tm, .Lfunc_end13-_Z16flag_sync_kernelILi6ELi0EEvP15transfer_data_tP16profiling_data_tm
                                        ; -- End function
	.set _Z16flag_sync_kernelILi6ELi0EEvP15transfer_data_tP16profiling_data_tm.num_vgpr, 45
	.set _Z16flag_sync_kernelILi6ELi0EEvP15transfer_data_tP16profiling_data_tm.num_agpr, 0
	.set _Z16flag_sync_kernelILi6ELi0EEvP15transfer_data_tP16profiling_data_tm.numbered_sgpr, 28
	.set _Z16flag_sync_kernelILi6ELi0EEvP15transfer_data_tP16profiling_data_tm.num_named_barrier, 0
	.set _Z16flag_sync_kernelILi6ELi0EEvP15transfer_data_tP16profiling_data_tm.private_seg_size, 0
	.set _Z16flag_sync_kernelILi6ELi0EEvP15transfer_data_tP16profiling_data_tm.uses_vcc, 1
	.set _Z16flag_sync_kernelILi6ELi0EEvP15transfer_data_tP16profiling_data_tm.uses_flat_scratch, 0
	.set _Z16flag_sync_kernelILi6ELi0EEvP15transfer_data_tP16profiling_data_tm.has_dyn_sized_stack, 0
	.set _Z16flag_sync_kernelILi6ELi0EEvP15transfer_data_tP16profiling_data_tm.has_recursion, 0
	.set _Z16flag_sync_kernelILi6ELi0EEvP15transfer_data_tP16profiling_data_tm.has_indirect_call, 0
	.section	.AMDGPU.csdata,"",@progbits
; Kernel info:
; codeLenInByte = 1520
; TotalNumSgprs: 32
; NumVgprs: 45
; ScratchSize: 0
; MemoryBound: 0
; FloatMode: 240
; IeeeMode: 1
; LDSByteSize: 0 bytes/workgroup (compile time only)
; SGPRBlocks: 3
; VGPRBlocks: 11
; NumSGPRsForWavesPerEU: 32
; NumVGPRsForWavesPerEU: 45
; Occupancy: 5
; WaveLimiterHint : 1
; COMPUTE_PGM_RSRC2:SCRATCH_EN: 0
; COMPUTE_PGM_RSRC2:USER_SGPR: 6
; COMPUTE_PGM_RSRC2:TRAP_HANDLER: 0
; COMPUTE_PGM_RSRC2:TGID_X_EN: 1
; COMPUTE_PGM_RSRC2:TGID_Y_EN: 0
; COMPUTE_PGM_RSRC2:TGID_Z_EN: 0
; COMPUTE_PGM_RSRC2:TIDIG_COMP_CNT: 0
	.section	.text._Z16flag_sync_kernelILi6ELi1EEvP15transfer_data_tP16profiling_data_tm,"axG",@progbits,_Z16flag_sync_kernelILi6ELi1EEvP15transfer_data_tP16profiling_data_tm,comdat
	.protected	_Z16flag_sync_kernelILi6ELi1EEvP15transfer_data_tP16profiling_data_tm ; -- Begin function _Z16flag_sync_kernelILi6ELi1EEvP15transfer_data_tP16profiling_data_tm
	.globl	_Z16flag_sync_kernelILi6ELi1EEvP15transfer_data_tP16profiling_data_tm
	.p2align	8
	.type	_Z16flag_sync_kernelILi6ELi1EEvP15transfer_data_tP16profiling_data_tm,@function
_Z16flag_sync_kernelILi6ELi1EEvP15transfer_data_tP16profiling_data_tm: ; @_Z16flag_sync_kernelILi6ELi1EEvP15transfer_data_tP16profiling_data_tm
; %bb.0:
	s_mov_b64 s[26:27], s[2:3]
	s_mov_b64 s[24:25], s[0:1]
	s_load_dwordx4 s[8:11], s[4:5], 0x0
	s_load_dwordx2 s[2:3], s[4:5], 0x10
	s_add_u32 s24, s24, s7
	s_addc_u32 s25, s25, 0
	v_cmp_eq_u32_e64 s[0:1], 0, v0
	s_waitcnt lgkmcnt(0)
	s_load_dword s18, s[8:9], 0x8c0
	s_and_saveexec_b64 s[4:5], s[0:1]
	s_cbranch_execz .LBB14_10
; %bb.1:
	s_load_dword s12, s[8:9], 0x8c4
	s_load_dwordx2 s[16:17], s[8:9], 0x8d0
	s_mov_b64 s[14:15], src_private_base
	s_waitcnt lgkmcnt(0)
	s_ashr_i32 s13, s12, 31
	s_lshl_b64 s[12:13], s[12:13], 3
	s_add_u32 s12, s16, s12
	s_addc_u32 s13, s17, s13
	s_cmp_eq_u32 s13, s15
	s_cselect_b64 s[14:15], -1, 0
	s_andn2_b64 vcc, exec, s[14:15]
	s_mov_b64 s[14:15], -1
	s_cbranch_vccz .LBB14_3
; %bb.2:
	v_mov_b32_e32 v1, 1
	v_mov_b32_e32 v3, s12
	;; [unrolled: 1-line block ×4, first 2 shown]
	flat_atomic_add_x2 v[3:4], v[1:2]
	s_waitcnt vmcnt(0) lgkmcnt(0)
	buffer_wbinvl1_vol
	s_mov_b64 s[14:15], 0
.LBB14_3:
	s_andn2_b64 vcc, exec, s[14:15]
	s_cbranch_vccnz .LBB14_5
; %bb.4:
	s_cmp_lg_u64 s[12:13], 0
	s_cselect_b32 s7, s12, -1
	v_mov_b32_e32 v1, s7
	buffer_load_dword v2, v1, s[24:27], 0 offen
	buffer_load_dword v3, v1, s[24:27], 0 offen offset:4
	s_waitcnt vmcnt(1)
	v_add_co_u32_e32 v2, vcc, 1, v2
	s_waitcnt vmcnt(0)
	v_addc_co_u32_e32 v3, vcc, 0, v3, vcc
	buffer_store_dword v2, v1, s[24:27], 0 offen
	buffer_store_dword v3, v1, s[24:27], 0 offen offset:4
.LBB14_5:
	v_mov_b32_e32 v1, 0
	global_load_dword v2, v1, s[8:9] offset:2248
	s_waitcnt vmcnt(0)
	v_cmp_gt_i32_e32 vcc, 1, v2
	s_cbranch_vccnz .LBB14_10
; %bb.6:
	s_mov_b32 s13, 0
	s_mov_b32 s12, s13
.LBB14_7:                               ; =>This Loop Header: Depth=1
                                        ;     Child Loop BB14_8 Depth 2
	s_lshl_b64 s[16:17], s[12:13], 3
	s_mov_b64 s[14:15], 0
	v_mov_b32_e32 v2, s17
.LBB14_8:                               ;   Parent Loop BB14_7 Depth=1
                                        ; =>  This Inner Loop Header: Depth=2
	global_load_dwordx2 v[3:4], v1, s[8:9] offset:2256
	s_waitcnt vmcnt(0)
	v_add_co_u32_e32 v3, vcc, s16, v3
	v_addc_co_u32_e32 v4, vcc, v4, v2, vcc
	flat_load_dwordx2 v[3:4], v[3:4] glc
	s_waitcnt vmcnt(0) lgkmcnt(0)
	buffer_wbinvl1_vol
	v_cmp_le_u64_e32 vcc, s[2:3], v[3:4]
	s_or_b64 s[14:15], vcc, s[14:15]
	s_andn2_b64 exec, exec, s[14:15]
	s_cbranch_execnz .LBB14_8
; %bb.9:                                ;   in Loop: Header=BB14_7 Depth=1
	s_or_b64 exec, exec, s[14:15]
	global_load_dword v2, v1, s[8:9] offset:2248
	s_add_i32 s12, s12, 1
	s_waitcnt vmcnt(0)
	v_cmp_lt_i32_e32 vcc, s12, v2
	s_cbranch_vccnz .LBB14_7
.LBB14_10:
	s_or_b64 exec, exec, s[4:5]
	s_waitcnt lgkmcnt(0)
	s_barrier
                                        ; implicit-def: $sgpr12_sgpr13
	s_and_saveexec_b64 s[2:3], s[0:1]
; %bb.11:
	s_memrealtime s[12:13]
; %bb.12:
	s_or_b64 exec, exec, s[2:3]
	s_ashr_i32 s7, s6, 31
	s_cmp_lt_i32 s18, 1
	s_cbranch_scc1 .LBB14_35
; %bb.13:
	s_lshl_b64 s[2:3], s[6:7], 3
	s_add_u32 s2, s8, s2
	s_addc_u32 s3, s9, s3
	v_mov_b32_e32 v5, 0
	global_load_dwordx2 v[1:2], v5, s[2:3]
	global_load_dwordx2 v[3:4], v5, s[2:3] offset:448
	v_lshrrev_b32_e32 v6, 6, v0
	v_and_b32_e32 v7, 63, v0
	s_mov_b32 s2, 0
	s_waitcnt vmcnt(0)
	v_or_b32_e32 v5, v3, v1
	v_and_b32_e32 v5, 3, v5
	v_cmp_eq_u32_e32 vcc, 0, v5
	v_lshl_or_b32 v5, v6, 9, v7
	s_cbranch_vccnz .LBB14_24
; %bb.14:
	v_lshl_or_b32 v6, v6, 9, v7
	s_mov_b64 s[8:9], -1
	s_cbranch_execnz .LBB14_25
.LBB14_15:
	s_lshr_b32 s2, s18, 2
	s_and_b32 s19, s2, 0x1ffffe00
	v_cmp_gt_u32_e32 vcc, s19, v5
	s_and_saveexec_b64 s[14:15], vcc
	s_cbranch_execz .LBB14_18
; %bb.16:
	v_lshlrev_b32_e32 v8, 4, v5
	v_add_co_u32_e32 v6, vcc, v3, v8
	v_addc_co_u32_e32 v7, vcc, 0, v4, vcc
	v_add_co_u32_e32 v8, vcc, v1, v8
	v_addc_co_u32_e32 v9, vcc, 0, v2, vcc
	s_mov_b64 s[16:17], 0
	s_movk_i32 s20, 0x1000
	v_mov_b32_e32 v10, v5
.LBB14_17:                              ; =>This Inner Loop Header: Depth=1
	v_add_co_u32_e32 v39, vcc, 0x1000, v8
	s_mov_b64 s[2:3], vcc
	flat_load_dwordx4 v[11:14], v[8:9] glc slc
	flat_load_dwordx4 v[15:18], v[8:9] offset:1024 glc slc
	flat_load_dwordx4 v[19:22], v[8:9] offset:2048 glc slc
	;; [unrolled: 1-line block ×3, first 2 shown]
	v_mov_b32_e32 v27, v39
	v_addc_co_u32_e64 v28, s[2:3], 0, v9, s[2:3]
	v_addc_co_u32_e32 v40, vcc, 0, v9, vcc
	flat_load_dwordx4 v[27:30], v[27:28] glc slc
	s_nop 0
	flat_load_dwordx4 v[31:34], v[39:40] offset:1024 glc slc
	flat_load_dwordx4 v[35:38], v[39:40] offset:2048 glc slc
	s_nop 0
	flat_load_dwordx4 v[39:42], v[39:40] offset:3072 glc slc
	v_add_co_u32_e32 v43, vcc, s20, v6
	s_mov_b64 s[2:3], vcc
	v_add_co_u32_e32 v8, vcc, 0x8000, v8
	v_add_u32_e32 v10, 0x800, v10
	v_addc_co_u32_e32 v9, vcc, 0, v9, vcc
	v_cmp_le_u32_e64 s[4:5], s19, v10
	s_or_b64 s[16:17], s[4:5], s[16:17]
	v_addc_co_u32_e64 v44, s[2:3], 0, v7, s[2:3]
	s_waitcnt vmcnt(0) lgkmcnt(0)
	flat_store_dwordx4 v[6:7], v[11:14] glc slc
	flat_store_dwordx4 v[6:7], v[15:18] offset:1024 glc slc
	flat_store_dwordx4 v[6:7], v[19:22] offset:2048 glc slc
	flat_store_dwordx4 v[6:7], v[23:26] offset:3072 glc slc
	v_add_co_u32_e32 v6, vcc, 0x8000, v6
	v_addc_co_u32_e32 v7, vcc, 0, v7, vcc
	flat_store_dwordx4 v[43:44], v[27:30] glc slc
	flat_store_dwordx4 v[43:44], v[31:34] offset:1024 glc slc
	flat_store_dwordx4 v[43:44], v[35:38] offset:2048 glc slc
	;; [unrolled: 1-line block ×3, first 2 shown]
	s_andn2_b64 exec, exec, s[16:17]
	s_cbranch_execnz .LBB14_17
.LBB14_18:
	s_or_b64 exec, exec, s[14:15]
	s_lshl_b32 s2, s19, 2
	s_cmp_eq_u32 s18, s2
	s_cbranch_scc1 .LBB14_26
; %bb.19:
	s_sub_i32 s16, s18, s2
	s_ashr_i32 s17, s16, 2
	v_cmp_gt_i32_e32 vcc, s17, v0
	s_and_saveexec_b64 s[4:5], vcc
	s_cbranch_execz .LBB14_22
; %bb.20:
	s_mov_b32 s3, 0
	s_lshl_b64 s[14:15], s[2:3], 2
	v_mov_b32_e32 v8, s15
	v_add_co_u32_e32 v6, vcc, s14, v3
	v_addc_co_u32_e32 v7, vcc, v4, v8, vcc
	v_lshlrev_b32_e32 v9, 4, v0
	v_add_co_u32_e32 v6, vcc, v6, v9
	v_addc_co_u32_e32 v7, vcc, 0, v7, vcc
	v_add_co_u32_e32 v10, vcc, s14, v1
	v_addc_co_u32_e32 v11, vcc, v2, v8, vcc
	;; [unrolled: 2-line block ×3, first 2 shown]
	s_mov_b64 s[14:15], 0
	v_mov_b32_e32 v10, v0
.LBB14_21:                              ; =>This Inner Loop Header: Depth=1
	flat_load_dwordx4 v[11:14], v[8:9] glc slc
	v_add_co_u32_e32 v8, vcc, 0x1000, v8
	v_add_u32_e32 v10, 0x100, v10
	v_addc_co_u32_e32 v9, vcc, 0, v9, vcc
	v_cmp_le_i32_e32 vcc, s17, v10
	s_or_b64 s[14:15], vcc, s[14:15]
	s_waitcnt vmcnt(0) lgkmcnt(0)
	flat_store_dwordx4 v[6:7], v[11:14]
	v_add_co_u32_e32 v6, vcc, 0x1000, v6
	v_addc_co_u32_e32 v7, vcc, 0, v7, vcc
	s_andn2_b64 exec, exec, s[14:15]
	s_cbranch_execnz .LBB14_21
.LBB14_22:
	s_or_b64 exec, exec, s[4:5]
	s_and_b32 s14, s18, 3
	s_cmp_eq_u32 s14, 0
	s_cbranch_scc1 .LBB14_27
; %bb.23:
	s_and_b32 s3, s16, -4
	s_add_i32 s2, s3, s2
	s_cbranch_execnz .LBB14_28
	s_branch .LBB14_35
.LBB14_24:
	s_mov_b64 s[8:9], 0
                                        ; implicit-def: $vgpr6
	s_branch .LBB14_15
.LBB14_25:
	s_mov_b32 s14, s18
	v_mov_b32_e32 v5, v6
	s_and_b64 vcc, exec, s[8:9]
	s_cbranch_vccnz .LBB14_28
	s_branch .LBB14_35
.LBB14_26:
                                        ; implicit-def: $sgpr14
.LBB14_27:
                                        ; implicit-def: $sgpr2
	s_and_b64 vcc, exec, s[8:9]
	s_cbranch_vccz .LBB14_35
.LBB14_28:
	s_and_b32 s15, s14, 0x7ffffe00
	v_cmp_gt_u32_e32 vcc, s15, v5
	s_and_saveexec_b64 s[4:5], vcc
	s_cbranch_execz .LBB14_31
; %bb.29:
	s_ashr_i32 s3, s2, 31
	s_lshl_b64 s[8:9], s[2:3], 2
	v_mov_b32_e32 v6, 0
	v_mov_b32_e32 v10, s9
	v_add_co_u32_e32 v7, vcc, s8, v3
	v_lshlrev_b64 v[8:9], 2, v[5:6]
	v_addc_co_u32_e32 v11, vcc, v4, v10, vcc
	v_add_co_u32_e32 v6, vcc, v7, v8
	v_addc_co_u32_e32 v7, vcc, v11, v9, vcc
	v_add_co_u32_e32 v11, vcc, s8, v1
	;; [unrolled: 2-line block ×3, first 2 shown]
	v_addc_co_u32_e32 v9, vcc, v10, v9, vcc
	s_mov_b64 s[8:9], 0
.LBB14_30:                              ; =>This Inner Loop Header: Depth=1
	flat_load_dword v10, v[8:9] glc slc
	flat_load_dword v11, v[8:9] offset:256 glc slc
	flat_load_dword v12, v[8:9] offset:512 glc slc
	;; [unrolled: 1-line block ×7, first 2 shown]
	v_add_co_u32_e32 v8, vcc, 0x2000, v8
	v_add_u32_e32 v5, 0x800, v5
	v_addc_co_u32_e32 v9, vcc, 0, v9, vcc
	v_cmp_le_u32_e32 vcc, s15, v5
	s_or_b64 s[8:9], vcc, s[8:9]
	s_waitcnt vmcnt(0) lgkmcnt(0)
	flat_store_dword v[6:7], v10 glc slc
	flat_store_dword v[6:7], v11 offset:256 glc slc
	flat_store_dword v[6:7], v12 offset:512 glc slc
	;; [unrolled: 1-line block ×7, first 2 shown]
	v_add_co_u32_e32 v6, vcc, 0x2000, v6
	v_addc_co_u32_e32 v7, vcc, 0, v7, vcc
	s_andn2_b64 exec, exec, s[8:9]
	s_cbranch_execnz .LBB14_30
.LBB14_31:
	s_or_b64 exec, exec, s[4:5]
	s_and_b32 s8, s14, 0x1ff
	s_cmp_lg_u32 s8, 0
	s_cselect_b64 s[4:5], -1, 0
	v_cmp_gt_u32_e32 vcc, s8, v0
	s_and_b64 s[16:17], s[4:5], vcc
	s_and_saveexec_b64 s[4:5], s[16:17]
	s_cbranch_execz .LBB14_34
; %bb.32:
	s_add_i32 s2, s15, s2
	s_ashr_i32 s3, s2, 31
	s_lshl_b64 s[2:3], s[2:3], 2
	v_mov_b32_e32 v5, s3
	v_add_co_u32_e32 v3, vcc, s2, v3
	v_addc_co_u32_e32 v4, vcc, v4, v5, vcc
	v_lshlrev_b32_e32 v6, 2, v0
	v_add_co_u32_e32 v3, vcc, v3, v6
	v_addc_co_u32_e32 v4, vcc, 0, v4, vcc
	v_add_co_u32_e32 v1, vcc, s2, v1
	v_addc_co_u32_e32 v2, vcc, v2, v5, vcc
	;; [unrolled: 2-line block ×3, first 2 shown]
	s_mov_b64 s[2:3], 0
.LBB14_33:                              ; =>This Inner Loop Header: Depth=1
	flat_load_dword v5, v[1:2] glc slc
	v_add_co_u32_e32 v1, vcc, 0x400, v1
	v_add_u32_e32 v0, 0x100, v0
	v_addc_co_u32_e32 v2, vcc, 0, v2, vcc
	v_cmp_le_u32_e32 vcc, s8, v0
	s_or_b64 s[2:3], vcc, s[2:3]
	s_waitcnt vmcnt(0) lgkmcnt(0)
	flat_store_dword v[3:4], v5 glc slc
	v_add_co_u32_e32 v3, vcc, 0x400, v3
	v_addc_co_u32_e32 v4, vcc, 0, v4, vcc
	s_andn2_b64 exec, exec, s[2:3]
	s_cbranch_execnz .LBB14_33
.LBB14_34:
	s_or_b64 exec, exec, s[4:5]
.LBB14_35:
	s_waitcnt vmcnt(0) lgkmcnt(0)
	s_barrier
	s_and_saveexec_b64 s[2:3], s[0:1]
	s_cbranch_execz .LBB14_40
; %bb.36:
	s_lshl_b64 s[0:1], s[6:7], 3
	s_memrealtime s[6:7]
	s_mov_b64 s[4:5], exec
	v_mbcnt_lo_u32_b32 v0, s4, 0
	s_add_u32 s0, s10, s0
	v_mbcnt_hi_u32_b32 v0, s5, v0
	s_addc_u32 s1, s11, s1
	v_cmp_eq_u32_e32 vcc, 0, v0
	s_and_saveexec_b64 s[2:3], vcc
	s_cbranch_execz .LBB14_38
; %bb.37:
	s_waitcnt lgkmcnt(0)
	s_sub_u32 s6, s6, s12
	s_subb_u32 s7, s7, s13
	s_bcnt1_i32_b64 s4, s[4:5]
	s_mul_i32 s7, s7, s4
	s_mul_hi_u32 s5, s6, s4
	s_add_i32 s5, s5, s7
	s_mul_i32 s6, s6, s4
	v_mov_b32_e32 v0, s6
	v_mov_b32_e32 v1, s5
	;; [unrolled: 1-line block ×3, first 2 shown]
	global_atomic_add_x2 v2, v[0:1], s[0:1]
	s_waitcnt vmcnt(0)
	buffer_wbinvl1_vol
.LBB14_38:
	s_or_b64 exec, exec, s[2:3]
	s_mov_b64 s[2:3], exec
	v_mbcnt_lo_u32_b32 v0, s2, 0
	v_mbcnt_hi_u32_b32 v0, s3, v0
	v_cmp_eq_u32_e32 vcc, 0, v0
	s_and_b64 s[4:5], exec, vcc
	s_mov_b64 exec, s[4:5]
	s_cbranch_execz .LBB14_40
; %bb.39:
	s_bcnt1_i32_b64 s2, s[2:3]
	s_mul_hi_i32 s3, s18, s2
	s_mul_i32 s2, s18, s2
	s_lshl_b64 s[2:3], s[2:3], 2
	v_mov_b32_e32 v0, s2
	v_mov_b32_e32 v2, 0
	;; [unrolled: 1-line block ×3, first 2 shown]
	s_waitcnt lgkmcnt(0)
	global_atomic_add_x2 v2, v[0:1], s[0:1] offset:448
	s_waitcnt vmcnt(0)
	buffer_wbinvl1_vol
.LBB14_40:
	s_endpgm
	.section	.rodata,"a",@progbits
	.p2align	6, 0x0
	.amdhsa_kernel _Z16flag_sync_kernelILi6ELi1EEvP15transfer_data_tP16profiling_data_tm
		.amdhsa_group_segment_fixed_size 0
		.amdhsa_private_segment_fixed_size 0
		.amdhsa_kernarg_size 24
		.amdhsa_user_sgpr_count 6
		.amdhsa_user_sgpr_private_segment_buffer 1
		.amdhsa_user_sgpr_dispatch_ptr 0
		.amdhsa_user_sgpr_queue_ptr 0
		.amdhsa_user_sgpr_kernarg_segment_ptr 1
		.amdhsa_user_sgpr_dispatch_id 0
		.amdhsa_user_sgpr_flat_scratch_init 0
		.amdhsa_user_sgpr_private_segment_size 0
		.amdhsa_uses_dynamic_stack 0
		.amdhsa_system_sgpr_private_segment_wavefront_offset 0
		.amdhsa_system_sgpr_workgroup_id_x 1
		.amdhsa_system_sgpr_workgroup_id_y 0
		.amdhsa_system_sgpr_workgroup_id_z 0
		.amdhsa_system_sgpr_workgroup_info 0
		.amdhsa_system_vgpr_workitem_id 0
		.amdhsa_next_free_vgpr 45
		.amdhsa_next_free_sgpr 28
		.amdhsa_reserve_vcc 1
		.amdhsa_reserve_flat_scratch 0
		.amdhsa_float_round_mode_32 0
		.amdhsa_float_round_mode_16_64 0
		.amdhsa_float_denorm_mode_32 3
		.amdhsa_float_denorm_mode_16_64 3
		.amdhsa_dx10_clamp 1
		.amdhsa_ieee_mode 1
		.amdhsa_fp16_overflow 0
		.amdhsa_exception_fp_ieee_invalid_op 0
		.amdhsa_exception_fp_denorm_src 0
		.amdhsa_exception_fp_ieee_div_zero 0
		.amdhsa_exception_fp_ieee_overflow 0
		.amdhsa_exception_fp_ieee_underflow 0
		.amdhsa_exception_fp_ieee_inexact 0
		.amdhsa_exception_int_div_zero 0
	.end_amdhsa_kernel
	.section	.text._Z16flag_sync_kernelILi6ELi1EEvP15transfer_data_tP16profiling_data_tm,"axG",@progbits,_Z16flag_sync_kernelILi6ELi1EEvP15transfer_data_tP16profiling_data_tm,comdat
.Lfunc_end14:
	.size	_Z16flag_sync_kernelILi6ELi1EEvP15transfer_data_tP16profiling_data_tm, .Lfunc_end14-_Z16flag_sync_kernelILi6ELi1EEvP15transfer_data_tP16profiling_data_tm
                                        ; -- End function
	.set _Z16flag_sync_kernelILi6ELi1EEvP15transfer_data_tP16profiling_data_tm.num_vgpr, 45
	.set _Z16flag_sync_kernelILi6ELi1EEvP15transfer_data_tP16profiling_data_tm.num_agpr, 0
	.set _Z16flag_sync_kernelILi6ELi1EEvP15transfer_data_tP16profiling_data_tm.numbered_sgpr, 28
	.set _Z16flag_sync_kernelILi6ELi1EEvP15transfer_data_tP16profiling_data_tm.num_named_barrier, 0
	.set _Z16flag_sync_kernelILi6ELi1EEvP15transfer_data_tP16profiling_data_tm.private_seg_size, 0
	.set _Z16flag_sync_kernelILi6ELi1EEvP15transfer_data_tP16profiling_data_tm.uses_vcc, 1
	.set _Z16flag_sync_kernelILi6ELi1EEvP15transfer_data_tP16profiling_data_tm.uses_flat_scratch, 0
	.set _Z16flag_sync_kernelILi6ELi1EEvP15transfer_data_tP16profiling_data_tm.has_dyn_sized_stack, 0
	.set _Z16flag_sync_kernelILi6ELi1EEvP15transfer_data_tP16profiling_data_tm.has_recursion, 0
	.set _Z16flag_sync_kernelILi6ELi1EEvP15transfer_data_tP16profiling_data_tm.has_indirect_call, 0
	.section	.AMDGPU.csdata,"",@progbits
; Kernel info:
; codeLenInByte = 1656
; TotalNumSgprs: 32
; NumVgprs: 45
; ScratchSize: 0
; MemoryBound: 0
; FloatMode: 240
; IeeeMode: 1
; LDSByteSize: 0 bytes/workgroup (compile time only)
; SGPRBlocks: 3
; VGPRBlocks: 11
; NumSGPRsForWavesPerEU: 32
; NumVGPRsForWavesPerEU: 45
; Occupancy: 5
; WaveLimiterHint : 1
; COMPUTE_PGM_RSRC2:SCRATCH_EN: 0
; COMPUTE_PGM_RSRC2:USER_SGPR: 6
; COMPUTE_PGM_RSRC2:TRAP_HANDLER: 0
; COMPUTE_PGM_RSRC2:TGID_X_EN: 1
; COMPUTE_PGM_RSRC2:TGID_Y_EN: 0
; COMPUTE_PGM_RSRC2:TGID_Z_EN: 0
; COMPUTE_PGM_RSRC2:TIDIG_COMP_CNT: 0
	.section	.AMDGPU.gpr_maximums,"",@progbits
	.set amdgpu.max_num_vgpr, 0
	.set amdgpu.max_num_agpr, 0
	.set amdgpu.max_num_sgpr, 0
	.section	.AMDGPU.csdata,"",@progbits
	.type	__hip_cuid_5db9a2d024b67cfd,@object ; @__hip_cuid_5db9a2d024b67cfd
	.section	.bss,"aw",@nobits
	.globl	__hip_cuid_5db9a2d024b67cfd
__hip_cuid_5db9a2d024b67cfd:
	.byte	0                               ; 0x0
	.size	__hip_cuid_5db9a2d024b67cfd, 1

	.ident	"AMD clang version 22.0.0git (https://github.com/RadeonOpenCompute/llvm-project roc-7.2.4 26084 f58b06dce1f9c15707c5f808fd002e18c2accf7e)"
	.section	".note.GNU-stack","",@progbits
	.addrsig
	.addrsig_sym __hip_cuid_5db9a2d024b67cfd
	.amdgpu_metadata
---
amdhsa.kernels:
  - .args:
      - .address_space:  global
        .offset:         0
        .size:           8
        .value_kind:     global_buffer
      - .offset:         8
        .size:           8
        .value_kind:     by_value
      - .offset:         16
        .size:           4
        .value_kind:     by_value
      - .offset:         24
        .size:           4
        .value_kind:     hidden_block_count_x
      - .offset:         28
        .size:           4
        .value_kind:     hidden_block_count_y
      - .offset:         32
        .size:           4
        .value_kind:     hidden_block_count_z
      - .offset:         36
        .size:           2
        .value_kind:     hidden_group_size_x
      - .offset:         38
        .size:           2
        .value_kind:     hidden_group_size_y
      - .offset:         40
        .size:           2
        .value_kind:     hidden_group_size_z
      - .offset:         42
        .size:           2
        .value_kind:     hidden_remainder_x
      - .offset:         44
        .size:           2
        .value_kind:     hidden_remainder_y
      - .offset:         46
        .size:           2
        .value_kind:     hidden_remainder_z
      - .offset:         64
        .size:           8
        .value_kind:     hidden_global_offset_x
      - .offset:         72
        .size:           8
        .value_kind:     hidden_global_offset_y
      - .offset:         80
        .size:           8
        .value_kind:     hidden_global_offset_z
      - .offset:         88
        .size:           2
        .value_kind:     hidden_grid_dims
    .group_segment_fixed_size: 0
    .kernarg_segment_align: 8
    .kernarg_segment_size: 280
    .language:       OpenCL C
    .language_version:
      - 2
      - 0
    .max_flat_workgroup_size: 1024
    .name:           _Z18initTestDataKernelPfmi
    .private_segment_fixed_size: 0
    .sgpr_count:     19
    .sgpr_spill_count: 0
    .symbol:         _Z18initTestDataKernelPfmi.kd
    .uniform_work_group_size: 1
    .uses_dynamic_stack: false
    .vgpr_count:     10
    .vgpr_spill_count: 0
    .wavefront_size: 64
  - .args:
      - .address_space:  global
        .offset:         0
        .size:           8
        .value_kind:     global_buffer
      - .address_space:  global
        .offset:         8
        .size:           8
        .value_kind:     global_buffer
      - .offset:         16
        .size:           8
        .value_kind:     by_value
    .group_segment_fixed_size: 0
    .kernarg_segment_align: 8
    .kernarg_segment_size: 24
    .language:       OpenCL C
    .language_version:
      - 2
      - 0
    .max_flat_workgroup_size: 1024
    .name:           _Z16flag_sync_kernelILi0ELi0EEvP15transfer_data_tP16profiling_data_tm
    .private_segment_fixed_size: 0
    .sgpr_count:     32
    .sgpr_spill_count: 0
    .symbol:         _Z16flag_sync_kernelILi0ELi0EEvP15transfer_data_tP16profiling_data_tm.kd
    .uniform_work_group_size: 1
    .uses_dynamic_stack: false
    .vgpr_count:     45
    .vgpr_spill_count: 0
    .wavefront_size: 64
  - .args:
      - .address_space:  global
        .offset:         0
        .size:           8
        .value_kind:     global_buffer
      - .address_space:  global
        .offset:         8
        .size:           8
        .value_kind:     global_buffer
      - .offset:         16
        .size:           8
        .value_kind:     by_value
    .group_segment_fixed_size: 0
    .kernarg_segment_align: 8
    .kernarg_segment_size: 24
    .language:       OpenCL C
    .language_version:
      - 2
      - 0
    .max_flat_workgroup_size: 1024
    .name:           _Z16flag_sync_kernelILi0ELi1EEvP15transfer_data_tP16profiling_data_tm
    .private_segment_fixed_size: 0
    .sgpr_count:     32
    .sgpr_spill_count: 0
    .symbol:         _Z16flag_sync_kernelILi0ELi1EEvP15transfer_data_tP16profiling_data_tm.kd
    .uniform_work_group_size: 1
    .uses_dynamic_stack: false
    .vgpr_count:     45
    .vgpr_spill_count: 0
    .wavefront_size: 64
  - .args:
      - .address_space:  global
        .offset:         0
        .size:           8
        .value_kind:     global_buffer
      - .address_space:  global
        .offset:         8
        .size:           8
        .value_kind:     global_buffer
      - .offset:         16
        .size:           8
        .value_kind:     by_value
    .group_segment_fixed_size: 0
    .kernarg_segment_align: 8
    .kernarg_segment_size: 24
    .language:       OpenCL C
    .language_version:
      - 2
      - 0
    .max_flat_workgroup_size: 1024
    .name:           _Z16flag_sync_kernelILi1ELi0EEvP15transfer_data_tP16profiling_data_tm
    .private_segment_fixed_size: 0
    .sgpr_count:     32
    .sgpr_spill_count: 0
    .symbol:         _Z16flag_sync_kernelILi1ELi0EEvP15transfer_data_tP16profiling_data_tm.kd
    .uniform_work_group_size: 1
    .uses_dynamic_stack: false
    .vgpr_count:     45
    .vgpr_spill_count: 0
    .wavefront_size: 64
  - .args:
      - .address_space:  global
        .offset:         0
        .size:           8
        .value_kind:     global_buffer
      - .address_space:  global
        .offset:         8
        .size:           8
        .value_kind:     global_buffer
      - .offset:         16
        .size:           8
        .value_kind:     by_value
    .group_segment_fixed_size: 0
    .kernarg_segment_align: 8
    .kernarg_segment_size: 24
    .language:       OpenCL C
    .language_version:
      - 2
      - 0
    .max_flat_workgroup_size: 1024
    .name:           _Z16flag_sync_kernelILi1ELi1EEvP15transfer_data_tP16profiling_data_tm
    .private_segment_fixed_size: 0
    .sgpr_count:     32
    .sgpr_spill_count: 0
    .symbol:         _Z16flag_sync_kernelILi1ELi1EEvP15transfer_data_tP16profiling_data_tm.kd
    .uniform_work_group_size: 1
    .uses_dynamic_stack: false
    .vgpr_count:     45
    .vgpr_spill_count: 0
    .wavefront_size: 64
  - .args:
      - .address_space:  global
        .offset:         0
        .size:           8
        .value_kind:     global_buffer
      - .address_space:  global
        .offset:         8
        .size:           8
        .value_kind:     global_buffer
      - .offset:         16
        .size:           8
        .value_kind:     by_value
    .group_segment_fixed_size: 0
    .kernarg_segment_align: 8
    .kernarg_segment_size: 24
    .language:       OpenCL C
    .language_version:
      - 2
      - 0
    .max_flat_workgroup_size: 1024
    .name:           _Z16flag_sync_kernelILi2ELi0EEvP15transfer_data_tP16profiling_data_tm
    .private_segment_fixed_size: 0
    .sgpr_count:     32
    .sgpr_spill_count: 0
    .symbol:         _Z16flag_sync_kernelILi2ELi0EEvP15transfer_data_tP16profiling_data_tm.kd
    .uniform_work_group_size: 1
    .uses_dynamic_stack: false
    .vgpr_count:     31
    .vgpr_spill_count: 0
    .wavefront_size: 64
  - .args:
      - .address_space:  global
        .offset:         0
        .size:           8
        .value_kind:     global_buffer
      - .address_space:  global
        .offset:         8
        .size:           8
        .value_kind:     global_buffer
      - .offset:         16
        .size:           8
        .value_kind:     by_value
    .group_segment_fixed_size: 0
    .kernarg_segment_align: 8
    .kernarg_segment_size: 24
    .language:       OpenCL C
    .language_version:
      - 2
      - 0
    .max_flat_workgroup_size: 1024
    .name:           _Z16flag_sync_kernelILi2ELi1EEvP15transfer_data_tP16profiling_data_tm
    .private_segment_fixed_size: 0
    .sgpr_count:     32
    .sgpr_spill_count: 0
    .symbol:         _Z16flag_sync_kernelILi2ELi1EEvP15transfer_data_tP16profiling_data_tm.kd
    .uniform_work_group_size: 1
    .uses_dynamic_stack: false
    .vgpr_count:     31
    .vgpr_spill_count: 0
    .wavefront_size: 64
  - .args:
      - .address_space:  global
        .offset:         0
        .size:           8
        .value_kind:     global_buffer
      - .address_space:  global
        .offset:         8
        .size:           8
        .value_kind:     global_buffer
      - .offset:         16
        .size:           8
        .value_kind:     by_value
    .group_segment_fixed_size: 0
    .kernarg_segment_align: 8
    .kernarg_segment_size: 24
    .language:       OpenCL C
    .language_version:
      - 2
      - 0
    .max_flat_workgroup_size: 1024
    .name:           _Z16flag_sync_kernelILi3ELi0EEvP15transfer_data_tP16profiling_data_tm
    .private_segment_fixed_size: 0
    .sgpr_count:     32
    .sgpr_spill_count: 0
    .symbol:         _Z16flag_sync_kernelILi3ELi0EEvP15transfer_data_tP16profiling_data_tm.kd
    .uniform_work_group_size: 1
    .uses_dynamic_stack: false
    .vgpr_count:     31
    .vgpr_spill_count: 0
    .wavefront_size: 64
  - .args:
      - .address_space:  global
        .offset:         0
        .size:           8
        .value_kind:     global_buffer
      - .address_space:  global
        .offset:         8
        .size:           8
        .value_kind:     global_buffer
      - .offset:         16
        .size:           8
        .value_kind:     by_value
    .group_segment_fixed_size: 0
    .kernarg_segment_align: 8
    .kernarg_segment_size: 24
    .language:       OpenCL C
    .language_version:
      - 2
      - 0
    .max_flat_workgroup_size: 1024
    .name:           _Z16flag_sync_kernelILi3ELi1EEvP15transfer_data_tP16profiling_data_tm
    .private_segment_fixed_size: 0
    .sgpr_count:     32
    .sgpr_spill_count: 0
    .symbol:         _Z16flag_sync_kernelILi3ELi1EEvP15transfer_data_tP16profiling_data_tm.kd
    .uniform_work_group_size: 1
    .uses_dynamic_stack: false
    .vgpr_count:     31
    .vgpr_spill_count: 0
    .wavefront_size: 64
  - .args:
      - .address_space:  global
        .offset:         0
        .size:           8
        .value_kind:     global_buffer
      - .address_space:  global
        .offset:         8
        .size:           8
        .value_kind:     global_buffer
      - .offset:         16
        .size:           8
        .value_kind:     by_value
    .group_segment_fixed_size: 0
    .kernarg_segment_align: 8
    .kernarg_segment_size: 24
    .language:       OpenCL C
    .language_version:
      - 2
      - 0
    .max_flat_workgroup_size: 1024
    .name:           _Z16flag_sync_kernelILi4ELi0EEvP15transfer_data_tP16profiling_data_tm
    .private_segment_fixed_size: 0
    .sgpr_count:     32
    .sgpr_spill_count: 0
    .symbol:         _Z16flag_sync_kernelILi4ELi0EEvP15transfer_data_tP16profiling_data_tm.kd
    .uniform_work_group_size: 1
    .uses_dynamic_stack: false
    .vgpr_count:     39
    .vgpr_spill_count: 0
    .wavefront_size: 64
  - .args:
      - .address_space:  global
        .offset:         0
        .size:           8
        .value_kind:     global_buffer
      - .address_space:  global
        .offset:         8
        .size:           8
        .value_kind:     global_buffer
      - .offset:         16
        .size:           8
        .value_kind:     by_value
    .group_segment_fixed_size: 0
    .kernarg_segment_align: 8
    .kernarg_segment_size: 24
    .language:       OpenCL C
    .language_version:
      - 2
      - 0
    .max_flat_workgroup_size: 1024
    .name:           _Z16flag_sync_kernelILi4ELi1EEvP15transfer_data_tP16profiling_data_tm
    .private_segment_fixed_size: 0
    .sgpr_count:     32
    .sgpr_spill_count: 0
    .symbol:         _Z16flag_sync_kernelILi4ELi1EEvP15transfer_data_tP16profiling_data_tm.kd
    .uniform_work_group_size: 1
    .uses_dynamic_stack: false
    .vgpr_count:     39
    .vgpr_spill_count: 0
    .wavefront_size: 64
  - .args:
      - .address_space:  global
        .offset:         0
        .size:           8
        .value_kind:     global_buffer
      - .address_space:  global
        .offset:         8
        .size:           8
        .value_kind:     global_buffer
      - .offset:         16
        .size:           8
        .value_kind:     by_value
    .group_segment_fixed_size: 0
    .kernarg_segment_align: 8
    .kernarg_segment_size: 24
    .language:       OpenCL C
    .language_version:
      - 2
      - 0
    .max_flat_workgroup_size: 1024
    .name:           _Z16flag_sync_kernelILi5ELi0EEvP15transfer_data_tP16profiling_data_tm
    .private_segment_fixed_size: 0
    .sgpr_count:     32
    .sgpr_spill_count: 0
    .symbol:         _Z16flag_sync_kernelILi5ELi0EEvP15transfer_data_tP16profiling_data_tm.kd
    .uniform_work_group_size: 1
    .uses_dynamic_stack: false
    .vgpr_count:     43
    .vgpr_spill_count: 0
    .wavefront_size: 64
  - .args:
      - .address_space:  global
        .offset:         0
        .size:           8
        .value_kind:     global_buffer
      - .address_space:  global
        .offset:         8
        .size:           8
        .value_kind:     global_buffer
      - .offset:         16
        .size:           8
        .value_kind:     by_value
    .group_segment_fixed_size: 0
    .kernarg_segment_align: 8
    .kernarg_segment_size: 24
    .language:       OpenCL C
    .language_version:
      - 2
      - 0
    .max_flat_workgroup_size: 1024
    .name:           _Z16flag_sync_kernelILi5ELi1EEvP15transfer_data_tP16profiling_data_tm
    .private_segment_fixed_size: 0
    .sgpr_count:     32
    .sgpr_spill_count: 0
    .symbol:         _Z16flag_sync_kernelILi5ELi1EEvP15transfer_data_tP16profiling_data_tm.kd
    .uniform_work_group_size: 1
    .uses_dynamic_stack: false
    .vgpr_count:     43
    .vgpr_spill_count: 0
    .wavefront_size: 64
  - .args:
      - .address_space:  global
        .offset:         0
        .size:           8
        .value_kind:     global_buffer
      - .address_space:  global
        .offset:         8
        .size:           8
        .value_kind:     global_buffer
      - .offset:         16
        .size:           8
        .value_kind:     by_value
    .group_segment_fixed_size: 0
    .kernarg_segment_align: 8
    .kernarg_segment_size: 24
    .language:       OpenCL C
    .language_version:
      - 2
      - 0
    .max_flat_workgroup_size: 1024
    .name:           _Z16flag_sync_kernelILi6ELi0EEvP15transfer_data_tP16profiling_data_tm
    .private_segment_fixed_size: 0
    .sgpr_count:     32
    .sgpr_spill_count: 0
    .symbol:         _Z16flag_sync_kernelILi6ELi0EEvP15transfer_data_tP16profiling_data_tm.kd
    .uniform_work_group_size: 1
    .uses_dynamic_stack: false
    .vgpr_count:     45
    .vgpr_spill_count: 0
    .wavefront_size: 64
  - .args:
      - .address_space:  global
        .offset:         0
        .size:           8
        .value_kind:     global_buffer
      - .address_space:  global
        .offset:         8
        .size:           8
        .value_kind:     global_buffer
      - .offset:         16
        .size:           8
        .value_kind:     by_value
    .group_segment_fixed_size: 0
    .kernarg_segment_align: 8
    .kernarg_segment_size: 24
    .language:       OpenCL C
    .language_version:
      - 2
      - 0
    .max_flat_workgroup_size: 1024
    .name:           _Z16flag_sync_kernelILi6ELi1EEvP15transfer_data_tP16profiling_data_tm
    .private_segment_fixed_size: 0
    .sgpr_count:     32
    .sgpr_spill_count: 0
    .symbol:         _Z16flag_sync_kernelILi6ELi1EEvP15transfer_data_tP16profiling_data_tm.kd
    .uniform_work_group_size: 1
    .uses_dynamic_stack: false
    .vgpr_count:     45
    .vgpr_spill_count: 0
    .wavefront_size: 64
amdhsa.target:   amdgcn-amd-amdhsa--gfx906
amdhsa.version:
  - 1
  - 2
...

	.end_amdgpu_metadata
